;; amdgpu-corpus repo=zjin-lcf/HeCBench kind=compiled arch=gfx1250 opt=O3
	.amdgcn_target "amdgcn-amd-amdhsa--gfx1250"
	.amdhsa_code_object_version 6
	.section	.text._Z6kalmanILi8EEvPKdiS1_S1_S1_S1_S1_bS1_iPdS2_S2_iiS2_bS2_,"axG",@progbits,_Z6kalmanILi8EEvPKdiS1_S1_S1_S1_S1_bS1_iPdS2_S2_iiS2_bS2_,comdat
	.protected	_Z6kalmanILi8EEvPKdiS1_S1_S1_S1_S1_bS1_iPdS2_S2_iiS2_bS2_ ; -- Begin function _Z6kalmanILi8EEvPKdiS1_S1_S1_S1_S1_bS1_iPdS2_S2_iiS2_bS2_
	.globl	_Z6kalmanILi8EEvPKdiS1_S1_S1_S1_S1_bS1_iPdS2_S2_iiS2_bS2_
	.p2align	8
	.type	_Z6kalmanILi8EEvPKdiS1_S1_S1_S1_S1_bS1_iPdS2_S2_iiS2_bS2_,@function
_Z6kalmanILi8EEvPKdiS1_S1_S1_S1_S1_bS1_iPdS2_S2_iiS2_bS2_: ; @_Z6kalmanILi8EEvPKdiS1_S1_S1_S1_S1_bS1_iPdS2_S2_iiS2_bS2_
; %bb.0:
	s_clause 0x1
	s_load_b32 s2, s[0:1], 0x94
	s_load_b32 s3, s[0:1], 0x48
	s_bfe_u32 s4, ttmp6, 0x4000c
	s_and_b32 s5, ttmp6, 15
	s_add_co_i32 s4, s4, 1
	s_getreg_b32 s6, hwreg(HW_REG_IB_STS2, 6, 4)
	s_mul_i32 s4, ttmp9, s4
	s_delay_alu instid0(SALU_CYCLE_1) | instskip(SKIP_4) | instid1(SALU_CYCLE_1)
	s_add_co_i32 s5, s5, s4
	s_wait_kmcnt 0x0
	s_and_b32 s2, s2, 0xffff
	s_cmp_eq_u32 s6, 0
	s_cselect_b32 s4, ttmp9, s5
	v_mad_u32 v4, s4, s2, v0
	s_mov_b32 s2, exec_lo
	s_delay_alu instid0(VALU_DEP_1)
	v_cmpx_gt_i32_e64 s3, v4
	s_cbranch_execz .LBB0_49
; %bb.1:
	s_clause 0x1
	s_load_b256 s[4:11], s[0:1], 0x10
	s_load_b64 s[2:3], s[0:1], 0x68
	v_lshlrev_b32_e32 v0, 6, v4
	s_load_b64 s[12:13], s[0:1], 0x30
	s_delay_alu instid0(VALU_DEP_1) | instskip(NEXT) | instid1(VALU_DEP_1)
	v_ashrrev_i32_e32 v1, 31, v0
	v_lshlrev_b64_e32 v[2:3], 3, v[0:1]
	v_mov_b32_e32 v0, v4
	scratch_store_b64 off, v[0:1], off offset:2480 ; 8-byte Folded Spill
	s_wait_xcnt 0x0
	v_lshlrev_b32_e32 v0, 3, v4
	s_wait_kmcnt 0x0
	v_add_nc_u64_e32 v[4:5], s[8:9], v[2:3]
	v_add_nc_u64_e32 v[6:7], s[4:5], v[2:3]
	;; [unrolled: 1-line block ×3, first 2 shown]
	s_cmp_gt_i32 s2, 0
	v_ashrrev_i32_e32 v1, 31, v0
	s_cselect_b32 s4, -1, 0
	s_cmp_lt_i32 s2, 1
	global_load_b128 v[8:11], v[4:5], off offset:48
	s_wait_loadcnt 0x0
	scratch_store_b128 off, v[8:11], off offset:1960 ; 16-byte Folded Spill
	global_load_b128 v[8:11], v[4:5], off offset:32
	s_wait_loadcnt 0x0
	scratch_store_b128 off, v[8:11], off offset:1976 ; 16-byte Folded Spill
	;; [unrolled: 3-line block ×3, first 2 shown]
	global_load_b128 v[8:11], v[4:5], off
	s_wait_loadcnt 0x0
	scratch_store_b128 off, v[8:11], off offset:2008 ; 16-byte Folded Spill
	global_load_b128 v[8:11], v[4:5], off offset:112
	s_wait_loadcnt 0x0
	scratch_store_b128 off, v[8:11], off offset:2024 ; 16-byte Folded Spill
	global_load_b128 v[8:11], v[4:5], off offset:96
	;; [unrolled: 3-line block ×31, first 2 shown]
	s_wait_loadcnt 0x0
	scratch_store_b128 off, v[8:11], off offset:968 ; 16-byte Folded Spill
	global_load_b128 v[8:11], v[6:7], off
	s_wait_loadcnt 0x0
	scratch_store_b128 off, v[8:11], off offset:288 ; 16-byte Folded Spill
	global_load_b128 v[8:11], v[6:7], off offset:112
	s_wait_loadcnt 0x0
	scratch_store_b128 off, v[8:11], off offset:112 ; 16-byte Folded Spill
	global_load_b128 v[8:11], v[6:7], off offset:96
	;; [unrolled: 3-line block ×5, first 2 shown]
	s_wait_loadcnt 0x0
	scratch_store_b128 off, v[8:11], off offset:336 ; 16-byte Folded Spill
	s_clause 0x1
	global_load_b128 v[14:17], v[6:7], off offset:160
	global_load_b128 v[8:11], v[6:7], off offset:144
	s_wait_loadcnt 0x0
	scratch_store_b128 off, v[8:11], off offset:80 ; 16-byte Folded Spill
	global_load_b128 v[8:11], v[6:7], off offset:128
	s_wait_loadcnt 0x0
	scratch_store_b128 off, v[8:11], off offset:208 ; 16-byte Folded Spill
	;; [unrolled: 3-line block ×6, first 2 shown]
	s_clause 0x1
	global_load_b128 v[68:71], v[6:7], off offset:304
	global_load_b128 v[8:11], v[6:7], off offset:288
	s_wait_loadcnt 0x0
	scratch_store_b128 off, v[8:11], off offset:128 ; 16-byte Folded Spill
	global_load_b128 v[8:11], v[6:7], off offset:272
	s_wait_loadcnt 0x0
	scratch_store_b128 off, v[8:11], off offset:96 ; 16-byte Folded Spill
	;; [unrolled: 3-line block ×7, first 2 shown]
	s_clause 0x1
	global_load_b128 v[80:83], v[6:7], off offset:432
	global_load_b128 v[8:11], v[6:7], off offset:416
	s_wait_loadcnt 0x0
	scratch_store_b128 off, v[8:11], off offset:1152 ; 16-byte Folded Spill
	global_load_b128 v[8:11], v[6:7], off offset:400
	s_wait_loadcnt 0x0
	scratch_store_b128 off, v[8:11], off offset:1120 ; 16-byte Folded Spill
	;; [unrolled: 3-line block ×4, first 2 shown]
	s_clause 0x2
	global_load_b128 v[54:57], v[6:7], off offset:480
	global_load_b128 v[8:11], v[6:7], off offset:464
	;; [unrolled: 1-line block ×3, first 2 shown]
	s_wait_loadcnt 0x0
	scratch_store_b128 off, v[4:7], off offset:1000 ; 16-byte Folded Spill
	global_load_b128 v[4:7], v[2:3], off offset:48
	scratch_store_b128 off, v[8:11], off offset:984 ; 16-byte Folded Spill
	s_wait_loadcnt 0x0
	scratch_store_b128 off, v[4:7], off offset:576 ; 16-byte Folded Spill
	s_clause 0x8
	global_load_b128 v[46:49], v[2:3], off offset:32
	global_load_b128 v[10:13], v[2:3], off offset:16
	global_load_b128 v[38:41], v[2:3], off
	global_load_b128 v[30:33], v[2:3], off offset:112
	global_load_b128 v[42:45], v[2:3], off offset:96
	;; [unrolled: 1-line block ×6, first 2 shown]
	s_wait_loadcnt 0x0
	scratch_store_b128 off, v[4:7], off offset:608 ; 16-byte Folded Spill
	global_load_b128 v[4:7], v[2:3], off offset:144
	s_wait_loadcnt 0x0
	scratch_store_b128 off, v[4:7], off offset:752 ; 16-byte Folded Spill
	s_clause 0x1
	global_load_b128 v[86:89], v[2:3], off offset:128
	global_load_b128 v[4:7], v[2:3], off offset:240
	s_wait_loadcnt 0x0
	scratch_store_b128 off, v[4:7], off offset:448 ; 16-byte Folded Spill
	s_clause 0x1
	global_load_b128 v[34:37], v[2:3], off offset:224
	global_load_b128 v[4:7], v[2:3], off offset:208
	s_wait_loadcnt 0x0
	scratch_store_b128 off, v[4:7], off offset:656 ; 16-byte Folded Spill
	global_load_b128 v[4:7], v[2:3], off offset:192
	s_wait_loadcnt 0x0
	scratch_store_b128 off, v[4:7], off offset:672 ; 16-byte Folded Spill
	;; [unrolled: 3-line block ×3, first 2 shown]
	s_clause 0x2
	global_load_b128 v[50:53], v[2:3], off offset:288
	global_load_b128 v[18:21], v[2:3], off offset:272
	;; [unrolled: 1-line block ×3, first 2 shown]
	s_wait_loadcnt 0x0
	scratch_store_b128 off, v[4:7], off offset:688 ; 16-byte Folded Spill
	global_load_b128 v[4:7], v[2:3], off offset:368
	s_wait_loadcnt 0x0
	scratch_store_b128 off, v[4:7], off offset:496 ; 16-byte Folded Spill
	global_load_b128 v[4:7], v[2:3], off offset:352
	;; [unrolled: 3-line block ×3, first 2 shown]
	s_wait_loadcnt 0x0
	scratch_store_b128 off, v[4:7], off offset:704 ; 16-byte Folded Spill
	s_clause 0x1
	global_load_b128 v[6:9], v[2:3], off offset:320
	global_load_b128 v[22:25], v[2:3], off offset:432
	s_wait_loadcnt 0x0
	scratch_store_b128 off, v[22:25], off offset:464 ; 16-byte Folded Spill
	global_load_b128 v[22:25], v[2:3], off offset:416
	s_wait_loadcnt 0x0
	scratch_store_b128 off, v[22:25], off offset:400 ; 16-byte Folded Spill
	s_clause 0x1
	global_load_b128 v[76:79], v[2:3], off offset:400
	global_load_b128 v[22:25], v[2:3], off offset:384
	s_wait_loadcnt 0x0
	scratch_store_b128 off, v[22:25], off offset:784 ; 16-byte Folded Spill
	global_load_b128 v[22:25], v[2:3], off offset:496
	s_wait_loadcnt 0x0
	scratch_store_b128 off, v[22:25], off offset:544 ; 16-byte Folded Spill
	s_clause 0x2
	global_load_b128 v[64:67], v[2:3], off offset:480
	global_load_b128 v[22:25], v[2:3], off offset:464
	;; [unrolled: 1-line block ×3, first 2 shown]
	s_wait_loadcnt 0x0
	scratch_store_b128 off, v[2:5], off offset:768 ; 16-byte Folded Spill
	s_wait_xcnt 0x0
	v_mov_b64_e32 v[2:3], 0
	scratch_store_b64 off, v[2:3], off offset:1192 ; 8-byte Folded Spill
	s_wait_xcnt 0x0
	v_mov_b64_e32 v[2:3], 0
	scratch_store_b64 off, v[2:3], off offset:1200 ; 8-byte Folded Spill
	s_wait_xcnt 0x0
	v_lshl_add_u64 v[2:3], v[0:1], 3, s[6:7]
	s_cbranch_scc1 .LBB0_3
; %bb.2:
	global_load_b64 v[4:5], v[2:3], off
	s_wait_loadcnt 0x0
	scratch_store_b64 off, v[4:5], off offset:1200 ; 8-byte Folded Spill
.LBB0_3:
	v_lshl_add_u64 v[0:1], v[0:1], 3, s[12:13]
	s_clause 0x4
	scratch_store_b128 off, v[42:45], off offset:624
	scratch_store_b128 off, v[34:37], off offset:592
	;; [unrolled: 1-line block ×5, first 2 shown]
	s_wait_xcnt 0x5
	v_cndmask_b32_e64 v4, 0, 1, s4
	s_and_not1_b32 vcc_lo, exec_lo, s4
	global_load_b64 v[92:93], v[0:1], off
	s_cbranch_vccnz .LBB0_5
; %bb.4:
	global_load_b64 v[6:7], v[2:3], off offset:8
	s_wait_loadcnt 0x0
	scratch_store_b64 off, v[6:7], off offset:1192 ; 8-byte Folded Spill
.LBB0_5:
	global_load_b64 v[94:95], v[0:1], off offset:8
	s_wait_xcnt 0x1
	v_mov_b64_e32 v[6:7], 0
	v_mov_b64_e32 v[18:19], v[80:81]
	v_cmp_ne_u32_e32 vcc_lo, 1, v4
	v_mov_b64_e32 v[20:21], v[82:83]
	s_and_b32 vcc_lo, exec_lo, vcc_lo
	scratch_store_b64 off, v[6:7], off offset:1208 ; 8-byte Folded Spill
	s_wait_xcnt 0x0
	v_mov_b64_e32 v[6:7], 0
	scratch_store_b64 off, v[6:7], off offset:1216 ; 8-byte Folded Spill
	s_cbranch_vccnz .LBB0_7
; %bb.6:
	global_load_b64 v[6:7], v[2:3], off offset:16
	s_wait_loadcnt 0x0
	scratch_store_b64 off, v[6:7], off offset:1216 ; 8-byte Folded Spill
.LBB0_7:
	global_load_b64 v[96:97], v[0:1], off offset:16
	v_cmp_ne_u32_e32 vcc_lo, 1, v4
	scratch_store_b128 off, v[26:29], off offset:736 ; 16-byte Folded Spill
	s_cbranch_vccnz .LBB0_9
; %bb.8:
	global_load_b64 v[6:7], v[2:3], off offset:24
	s_wait_loadcnt 0x0
	scratch_store_b64 off, v[6:7], off offset:1208 ; 8-byte Folded Spill
.LBB0_9:
	global_load_b64 v[98:99], v[0:1], off offset:24
	s_wait_xcnt 0x1
	v_mov_b64_e32 v[6:7], 0
	v_mov_b64_e32 v[26:27], v[54:55]
	v_cmp_ne_u32_e32 vcc_lo, 1, v4
	v_mov_b64_e32 v[28:29], v[56:57]
	s_and_b32 vcc_lo, exec_lo, vcc_lo
	scratch_store_b64 off, v[6:7], off offset:1224 ; 8-byte Folded Spill
	s_wait_xcnt 0x0
	v_mov_b64_e32 v[6:7], 0
	scratch_store_b64 off, v[6:7], off offset:1232 ; 8-byte Folded Spill
	s_cbranch_vccnz .LBB0_11
; %bb.10:
	global_load_b64 v[6:7], v[2:3], off offset:32
	s_wait_loadcnt 0x0
	scratch_store_b64 off, v[6:7], off offset:1232 ; 8-byte Folded Spill
.LBB0_11:
	global_load_b64 v[100:101], v[0:1], off offset:32
	v_cmp_ne_u32_e32 vcc_lo, 1, v4
	scratch_store_b128 off, v[22:25], off offset:480 ; 16-byte Folded Spill
	s_cbranch_vccnz .LBB0_13
; %bb.12:
	global_load_b64 v[6:7], v[2:3], off offset:40
	s_wait_loadcnt 0x0
	scratch_store_b64 off, v[6:7], off offset:1224 ; 8-byte Folded Spill
.LBB0_13:
	global_load_b64 v[102:103], v[0:1], off offset:40
	v_mov_b64_e32 v[80:81], 0
	v_cmp_ne_u32_e32 vcc_lo, 1, v4
	s_wait_xcnt 0x1
	v_mov_b64_e32 v[6:7], 0
	scratch_store_b64 off, v[6:7], off offset:1240 ; 8-byte Folded Spill
	s_cbranch_vccnz .LBB0_15
; %bb.14:
	global_load_b64 v[6:7], v[2:3], off offset:48
	s_wait_loadcnt 0x0
	scratch_store_b64 off, v[6:7], off offset:1240 ; 8-byte Folded Spill
.LBB0_15:
	global_load_b64 v[104:105], v[0:1], off offset:48
	v_cmp_ne_u32_e32 vcc_lo, 1, v4
	s_cbranch_vccnz .LBB0_17
; %bb.16:
	global_load_b64 v[80:81], v[2:3], off offset:56
.LBB0_17:
	global_load_b64 v[106:107], v[0:1], off offset:56
	s_wait_xcnt 0x0
	v_mov_b64_e32 v[0:1], 0
	s_load_b32 s4, s[0:1], 0x38
	scratch_store_b64 off, v[0:1], off offset:2472 ; 8-byte Folded Spill
	s_wait_xcnt 0x0
	v_mov_b64_e32 v[0:1], 0
	s_clause 0x1
	scratch_store_b64 off, v[0:1], off offset:1616
	scratch_load_b64 v[0:1], off, off offset:2480
	s_wait_kmcnt 0x0
	s_bitcmp0_b32 s4, 0
	s_wait_loadcnt 0x0
	v_ashrrev_i32_e32 v1, 31, v0
	scratch_store_b64 off, v[0:1], off offset:2480 ; 8-byte Folded Spill
	s_cbranch_scc1 .LBB0_19
; %bb.18:
	scratch_load_b64 v[0:1], off, off offset:2480 ; 8-byte Folded Reload
	s_load_b64 s[4:5], s[0:1], 0x40
	s_wait_loadcnt 0x0
	s_wait_kmcnt 0x0
	v_lshl_add_u64 v[0:1], v[0:1], 3, s[4:5]
	global_load_b64 v[0:1], v[0:1], off
	s_wait_loadcnt 0x0
	scratch_store_b64 off, v[0:1], off offset:1616 ; 8-byte Folded Spill
.LBB0_19:
	s_load_b32 s8, s[0:1], 0x8
	s_clause 0x4
	scratch_store_b128 off, v[14:17], off offset:352
	scratch_store_b128 off, v[68:71], off offset:256
	;; [unrolled: 1-line block ×3, first 2 shown]
	scratch_store_b128 off, v[26:29], off
	scratch_store_b64 off, v[80:81], off offset:1504
	s_wait_kmcnt 0x0
	s_cmp_lt_i32 s8, 1
	s_cbranch_scc1 .LBB0_36
; %bb.20:
	s_clause 0x1
	s_load_b128 s[4:7], s[0:1], 0x50
	s_load_b64 s[10:11], s[0:1], 0x0
	scratch_load_b64 v[0:1], off, off offset:2480 ; 8-byte Folded Reload
	s_cmp_lg_u32 s2, 0
	s_mov_b32 s9, 0
	s_wait_loadcnt 0x0
	v_mul_lo_u32 v0, v0, s8
	s_delay_alu instid0(VALU_DEP_1) | instskip(NEXT) | instid1(VALU_DEP_1)
	v_ashrrev_i32_e32 v1, 31, v0
	v_lshlrev_b64_e32 v[0:1], 3, v[0:1]
	s_wait_kmcnt 0x0
	s_delay_alu instid0(VALU_DEP_1)
	v_add_nc_u64_e32 v[2:3], s[10:11], v[0:1]
	v_add_nc_u64_e32 v[22:23], s[4:5], v[0:1]
	;; [unrolled: 1-line block ×3, first 2 shown]
	v_mov_b64_e32 v[0:1], 0
	s_cselect_b32 s10, -1, 0
	s_mov_b64 s[4:5], 0x3fe5555555555555
	s_mov_b64 s[6:7], 0x3fe62e42fefa39ef
	s_lshl_b32 s11, s2, 1
	s_clause 0x2
	scratch_store_b64 off, v[0:1], off offset:2472
	scratch_load_b128 v[68:71], off, off offset:784
	scratch_load_b128 v[26:29], off, off offset:112
                                        ; implicit-def: $vgpr0_vgpr1
                                        ; implicit-def: $vgpr0_vgpr1
	;; [unrolled: 1-line block ×5, first 2 shown]
.LBB0_21:                               ; =>This Inner Loop Header: Depth=1
	global_load_b64 v[0:1], v[2:3], off
	scratch_load_b128 v[42:45], off, off offset:400 ; 16-byte Folded Reload
	s_and_not1_b32 vcc_lo, exec_lo, s10
	scratch_store_b64 off, v[2:3], off offset:1624 ; 8-byte Folded Spill
	s_cbranch_vccnz .LBB0_34
; %bb.22:                               ;   in Loop: Header=BB0_21 Depth=1
	s_clause 0x1
	scratch_load_b64 v[2:3], off, off offset:1200
	scratch_load_b64 v[4:5], off, off offset:1192
	s_wait_loadcnt 0x1
	v_fma_f64 v[2:3], -v[92:93], v[2:3], v[0:1]
	s_wait_loadcnt 0x0
	s_delay_alu instid0(VALU_DEP_1)
	v_fma_f64 v[2:3], -v[94:95], v[4:5], v[2:3]
	scratch_load_b64 v[4:5], off, off offset:1216 ; 8-byte Folded Reload
	s_wait_loadcnt 0x0
	v_fma_f64 v[2:3], -v[96:97], v[4:5], v[2:3]
	scratch_load_b64 v[4:5], off, off offset:1208 ; 8-byte Folded Reload
	s_wait_loadcnt 0x0
	;; [unrolled: 3-line block ×5, first 2 shown]
	v_fma_f64 v[2:3], -v[104:105], v[4:5], v[2:3]
	s_delay_alu instid0(VALU_DEP_1)
	v_fma_f64 v[2:3], -v[106:107], v[80:81], v[2:3]
	s_cbranch_execnz .LBB0_24
.LBB0_23:                               ;   in Loop: Header=BB0_21 Depth=1
	s_wait_loadcnt 0x1
	s_wait_xcnt 0x0
	v_add_f64_e64 v[2:3], v[0:1], -v[92:93]
.LBB0_24:                               ;   in Loop: Header=BB0_21 Depth=1
	v_mov_b64_e32 v[16:17], v[38:39]
	s_and_not1_b32 vcc_lo, exec_lo, s10
	scratch_store_b64 off, v[2:3], off offset:1496 ; 8-byte Folded Spill
	global_store_b64 v[22:23], v[2:3], off
	s_cbranch_vccnz .LBB0_26
; %bb.25:                               ;   in Loop: Header=BB0_21 Depth=1
	s_clause 0x6
	scratch_load_b64 v[4:5], off, off offset:1200
	scratch_load_b64 v[8:9], off, off offset:1216
	;; [unrolled: 1-line block ×4, first 2 shown]
	scratch_load_b128 v[32:35], off, off offset:672
	scratch_load_b64 v[6:7], off, off offset:1208
	scratch_load_b64 v[20:21], off, off offset:1240
	v_mov_b64_e32 v[116:117], v[78:79]
	v_mov_b64_e32 v[114:115], v[76:77]
	s_clause 0x2
	scratch_load_b64 v[14:15], off, off offset:1224
	scratch_load_b128 v[72:75], off, off offset:464
	scratch_load_b128 v[120:123], off, off offset:576
	s_wait_loadcnt 0x9
	v_mul_f64_e32 v[0:1], v[38:39], v[4:5]
	s_wait_loadcnt 0x0
	v_mov_b64_e32 v[82:83], v[120:121]
	v_mov_b64_e32 v[84:85], v[122:123]
	s_delay_alu instid0(VALU_DEP_3) | instskip(SKIP_1) | instid1(VALU_DEP_1)
	v_fma_f64 v[16:17], v[0:1], v[4:5], 0
	v_mul_f64_e32 v[0:1], v[60:61], v[4:5]
	v_fmac_f64_e32 v[16:17], v[0:1], v[2:3]
	v_mul_f64_e32 v[0:1], v[86:87], v[4:5]
	s_delay_alu instid0(VALU_DEP_1)
	v_fmac_f64_e32 v[16:17], v[0:1], v[8:9]
	v_mul_f64_e32 v[0:1], v[32:33], v[4:5]
	scratch_load_b128 v[30:33], off, off offset:688 ; 16-byte Folded Reload
	v_fmac_f64_e32 v[16:17], v[0:1], v[6:7]
	s_wait_loadcnt 0x0
	v_mul_f64_e32 v[0:1], v[30:31], v[4:5]
	scratch_load_b128 v[28:31], off, off offset:528 ; 16-byte Folded Reload
	v_fmac_f64_e32 v[16:17], v[0:1], v[18:19]
	s_wait_loadcnt 0x0
	v_mul_f64_e32 v[0:1], v[28:29], v[4:5]
	scratch_load_b128 v[26:29], off, off offset:768 ; 16-byte Folded Reload
	v_fmac_f64_e32 v[16:17], v[0:1], v[14:15]
	v_mul_f64_e32 v[0:1], v[68:69], v[4:5]
	s_delay_alu instid0(VALU_DEP_1) | instskip(SKIP_2) | instid1(VALU_DEP_1)
	v_fmac_f64_e32 v[16:17], v[0:1], v[20:21]
	s_wait_loadcnt 0x0
	v_mul_f64_e32 v[0:1], v[26:27], v[4:5]
	v_fmac_f64_e32 v[16:17], v[0:1], v[80:81]
	v_mul_f64_e32 v[0:1], v[40:41], v[2:3]
	s_delay_alu instid0(VALU_DEP_1) | instskip(SKIP_1) | instid1(VALU_DEP_1)
	v_fmac_f64_e32 v[16:17], v[0:1], v[4:5]
	v_mul_f64_e32 v[0:1], v[62:63], v[2:3]
	v_fmac_f64_e32 v[16:17], v[0:1], v[2:3]
	v_mul_f64_e32 v[0:1], v[88:89], v[2:3]
	s_delay_alu instid0(VALU_DEP_1) | instskip(SKIP_1) | instid1(VALU_DEP_1)
	v_fmac_f64_e32 v[16:17], v[0:1], v[8:9]
	v_mul_f64_e32 v[0:1], v[34:35], v[2:3]
	v_fmac_f64_e32 v[16:17], v[0:1], v[6:7]
	v_mul_f64_e32 v[0:1], v[32:33], v[2:3]
	scratch_load_b128 v[32:35], off, off offset:752 ; 16-byte Folded Reload
	v_fmac_f64_e32 v[16:17], v[0:1], v[18:19]
	v_mul_f64_e32 v[0:1], v[30:31], v[2:3]
	s_delay_alu instid0(VALU_DEP_1) | instskip(SKIP_1) | instid1(VALU_DEP_1)
	v_fmac_f64_e32 v[16:17], v[0:1], v[14:15]
	v_mul_f64_e32 v[0:1], v[70:71], v[2:3]
	v_fmac_f64_e32 v[16:17], v[0:1], v[20:21]
	v_mul_f64_e32 v[0:1], v[28:29], v[2:3]
	s_delay_alu instid0(VALU_DEP_1) | instskip(SKIP_1) | instid1(VALU_DEP_1)
	v_fmac_f64_e32 v[16:17], v[0:1], v[80:81]
	v_mul_f64_e32 v[0:1], v[10:11], v[8:9]
	v_fmac_f64_e32 v[16:17], v[0:1], v[4:5]
	v_mul_f64_e32 v[0:1], v[108:109], v[8:9]
	s_delay_alu instid0(VALU_DEP_1)
	v_fmac_f64_e32 v[16:17], v[0:1], v[2:3]
	s_wait_loadcnt 0x0
	v_mul_f64_e32 v[0:1], v[32:33], v[8:9]
	scratch_load_b128 v[30:33], off, off offset:656 ; 16-byte Folded Reload
	v_fmac_f64_e32 v[16:17], v[0:1], v[8:9]
	s_wait_loadcnt 0x0
	v_mul_f64_e32 v[0:1], v[30:31], v[8:9]
	scratch_load_b128 v[28:31], off, off offset:720 ; 16-byte Folded Reload
	v_fmac_f64_e32 v[16:17], v[0:1], v[6:7]
	s_wait_loadcnt 0x0
	v_mul_f64_e32 v[0:1], v[28:29], v[8:9]
	scratch_load_b128 v[26:29], off, off offset:704 ; 16-byte Folded Reload
	v_fmac_f64_e32 v[16:17], v[0:1], v[18:19]
	s_wait_loadcnt 0x0
	v_mul_f64_e32 v[0:1], v[26:27], v[8:9]
	s_delay_alu instid0(VALU_DEP_1)
	v_fmac_f64_e32 v[16:17], v[0:1], v[14:15]
	v_mul_f64_e32 v[0:1], v[114:115], v[8:9]
	scratch_load_b128 v[112:115], off, off offset:480 ; 16-byte Folded Reload
	v_fmac_f64_e32 v[16:17], v[0:1], v[20:21]
	s_wait_loadcnt 0x0
	v_mul_f64_e32 v[0:1], v[112:113], v[8:9]
	s_delay_alu instid0(VALU_DEP_1) | instskip(SKIP_1) | instid1(VALU_DEP_1)
	v_fmac_f64_e32 v[16:17], v[0:1], v[80:81]
	v_mul_f64_e32 v[0:1], v[12:13], v[6:7]
	v_fmac_f64_e32 v[16:17], v[0:1], v[4:5]
	v_mul_f64_e32 v[0:1], v[110:111], v[6:7]
	s_delay_alu instid0(VALU_DEP_1) | instskip(SKIP_1) | instid1(VALU_DEP_1)
	v_fmac_f64_e32 v[16:17], v[0:1], v[2:3]
	v_mul_f64_e32 v[0:1], v[34:35], v[6:7]
	v_fmac_f64_e32 v[16:17], v[0:1], v[8:9]
	v_mul_f64_e32 v[0:1], v[32:33], v[6:7]
	scratch_load_b128 v[32:35], off, off offset:624 ; 16-byte Folded Reload
	v_fmac_f64_e32 v[16:17], v[0:1], v[6:7]
	v_mul_f64_e32 v[0:1], v[30:31], v[6:7]
	s_delay_alu instid0(VALU_DEP_1) | instskip(SKIP_1) | instid1(VALU_DEP_1)
	v_fmac_f64_e32 v[16:17], v[0:1], v[18:19]
	v_mul_f64_e32 v[0:1], v[28:29], v[6:7]
	v_fmac_f64_e32 v[16:17], v[0:1], v[14:15]
	v_mul_f64_e32 v[0:1], v[116:117], v[6:7]
	s_delay_alu instid0(VALU_DEP_1)
	v_fmac_f64_e32 v[16:17], v[0:1], v[20:21]
	v_mul_f64_e32 v[0:1], v[114:115], v[6:7]
	v_mov_b64_e32 v[114:115], v[70:71]
	v_mov_b64_e32 v[112:113], v[68:69]
	scratch_load_b128 v[68:71], off, off offset:736 ; 16-byte Folded Reload
	v_fmac_f64_e32 v[16:17], v[0:1], v[80:81]
	v_mul_f64_e32 v[0:1], v[46:47], v[18:19]
	s_delay_alu instid0(VALU_DEP_1)
	v_fmac_f64_e32 v[16:17], v[0:1], v[4:5]
	s_wait_loadcnt 0x1
	v_mul_f64_e32 v[0:1], v[32:33], v[18:19]
	scratch_load_b128 v[30:33], off, off offset:608 ; 16-byte Folded Reload
	v_fmac_f64_e32 v[16:17], v[0:1], v[2:3]
	s_wait_loadcnt 0x0
	v_mul_f64_e32 v[0:1], v[30:31], v[18:19]
	scratch_load_b128 v[28:31], off, off offset:592 ; 16-byte Folded Reload
	v_fmac_f64_e32 v[16:17], v[0:1], v[8:9]
	s_wait_loadcnt 0x0
	v_mul_f64_e32 v[0:1], v[28:29], v[18:19]
	scratch_load_b128 v[26:29], off, off offset:512 ; 16-byte Folded Reload
	v_fmac_f64_e32 v[16:17], v[0:1], v[6:7]
	v_mul_f64_e32 v[0:1], v[50:51], v[18:19]
	s_delay_alu instid0(VALU_DEP_1) | instskip(SKIP_2) | instid1(VALU_DEP_1)
	v_fmac_f64_e32 v[16:17], v[0:1], v[18:19]
	s_wait_loadcnt 0x0
	v_mul_f64_e32 v[0:1], v[26:27], v[18:19]
	v_fmac_f64_e32 v[16:17], v[0:1], v[14:15]
	v_mul_f64_e32 v[0:1], v[42:43], v[18:19]
	s_delay_alu instid0(VALU_DEP_1) | instskip(SKIP_1) | instid1(VALU_DEP_1)
	v_fmac_f64_e32 v[16:17], v[0:1], v[20:21]
	v_mul_f64_e32 v[0:1], v[64:65], v[18:19]
	v_fmac_f64_e32 v[16:17], v[0:1], v[80:81]
	v_mul_f64_e32 v[0:1], v[48:49], v[14:15]
	s_delay_alu instid0(VALU_DEP_1) | instskip(SKIP_4) | instid1(VALU_DEP_1)
	v_fmac_f64_e32 v[16:17], v[0:1], v[4:5]
	v_mul_f64_e32 v[0:1], v[34:35], v[14:15]
	scratch_load_b128 v[34:37], off, off offset:448 ; 16-byte Folded Reload
	v_fmac_f64_e32 v[16:17], v[0:1], v[2:3]
	v_mul_f64_e32 v[0:1], v[32:33], v[14:15]
	v_fmac_f64_e32 v[16:17], v[0:1], v[8:9]
	v_mul_f64_e32 v[0:1], v[30:31], v[14:15]
	s_delay_alu instid0(VALU_DEP_1) | instskip(SKIP_1) | instid1(VALU_DEP_1)
	v_fmac_f64_e32 v[16:17], v[0:1], v[6:7]
	v_mul_f64_e32 v[0:1], v[52:53], v[14:15]
	v_fmac_f64_e32 v[16:17], v[0:1], v[18:19]
	v_mul_f64_e32 v[0:1], v[28:29], v[14:15]
	scratch_load_b128 v[28:31], off, off offset:432 ; 16-byte Folded Reload
	v_fmac_f64_e32 v[16:17], v[0:1], v[14:15]
	v_mul_f64_e32 v[0:1], v[44:45], v[14:15]
	v_mov_b64_e32 v[42:43], v[108:109]
	v_mov_b64_e32 v[44:45], v[110:111]
	scratch_load_b128 v[108:111], off, off offset:560 ; 16-byte Folded Reload
	v_fmac_f64_e32 v[16:17], v[0:1], v[20:21]
	v_mul_f64_e32 v[0:1], v[66:67], v[14:15]
	s_delay_alu instid0(VALU_DEP_1) | instskip(SKIP_1) | instid1(VALU_DEP_1)
	v_fmac_f64_e32 v[16:17], v[0:1], v[80:81]
	v_mul_f64_e32 v[0:1], v[120:121], v[20:21]
	v_fmac_f64_e32 v[16:17], v[0:1], v[4:5]
	s_wait_loadcnt 0x0
	v_mul_f64_e32 v[0:1], v[108:109], v[20:21]
	s_delay_alu instid0(VALU_DEP_1) | instskip(SKIP_1) | instid1(VALU_DEP_1)
	v_fmac_f64_e32 v[16:17], v[0:1], v[2:3]
	v_mul_f64_e32 v[0:1], v[68:69], v[20:21]
	v_fmac_f64_e32 v[16:17], v[0:1], v[8:9]
	v_mul_f64_e32 v[0:1], v[34:35], v[20:21]
	scratch_load_b128 v[32:35], off, off offset:544 ; 16-byte Folded Reload
	v_fmac_f64_e32 v[16:17], v[0:1], v[6:7]
	v_mul_f64_e32 v[0:1], v[28:29], v[20:21]
	scratch_load_b128 v[26:29], off, off offset:496 ; 16-byte Folded Reload
	v_fmac_f64_e32 v[16:17], v[0:1], v[18:19]
	s_wait_loadcnt 0x0
	v_mul_f64_e32 v[0:1], v[26:27], v[20:21]
	s_delay_alu instid0(VALU_DEP_1) | instskip(SKIP_1) | instid1(VALU_DEP_1)
	v_fmac_f64_e32 v[16:17], v[0:1], v[14:15]
	v_mul_f64_e32 v[0:1], v[72:73], v[20:21]
	v_fmac_f64_e32 v[16:17], v[0:1], v[20:21]
	v_mul_f64_e32 v[0:1], v[32:33], v[20:21]
	s_delay_alu instid0(VALU_DEP_1) | instskip(SKIP_1) | instid1(VALU_DEP_1)
	v_fmac_f64_e32 v[16:17], v[0:1], v[80:81]
	v_mul_f64_e32 v[0:1], v[84:85], v[80:81]
	v_fmac_f64_e32 v[16:17], v[0:1], v[4:5]
	v_mul_f64_e32 v[0:1], v[110:111], v[80:81]
	v_mov_b64_e32 v[110:111], v[44:45]
	v_mov_b64_e32 v[108:109], v[42:43]
	scratch_load_b128 v[42:45], off, off offset:400 ; 16-byte Folded Reload
	v_fmac_f64_e32 v[16:17], v[0:1], v[2:3]
	v_mul_f64_e32 v[0:1], v[70:71], v[80:81]
	v_mov_b64_e32 v[68:69], v[112:113]
	v_mov_b64_e32 v[70:71], v[114:115]
	s_delay_alu instid0(VALU_DEP_3) | instskip(SKIP_1) | instid1(VALU_DEP_1)
	v_fmac_f64_e32 v[16:17], v[0:1], v[8:9]
	v_mul_f64_e32 v[0:1], v[36:37], v[80:81]
	v_fmac_f64_e32 v[16:17], v[0:1], v[6:7]
	v_mul_f64_e32 v[0:1], v[30:31], v[80:81]
	s_delay_alu instid0(VALU_DEP_1) | instskip(SKIP_4) | instid1(VALU_DEP_1)
	v_fmac_f64_e32 v[16:17], v[0:1], v[18:19]
	v_mul_f64_e32 v[0:1], v[28:29], v[80:81]
	scratch_load_b128 v[26:29], off, off offset:112 ; 16-byte Folded Reload
	v_fmac_f64_e32 v[16:17], v[0:1], v[14:15]
	v_mul_f64_e32 v[0:1], v[74:75], v[80:81]
	v_fmac_f64_e32 v[16:17], v[0:1], v[20:21]
	v_mul_f64_e32 v[0:1], v[34:35], v[80:81]
	s_delay_alu instid0(VALU_DEP_1)
	v_fmac_f64_e32 v[16:17], v[0:1], v[80:81]
.LBB0_26:                               ;   in Loop: Header=BB0_21 Depth=1
	v_mov_b64_e32 v[124:125], v[12:13]
	v_mov_b64_e32 v[122:123], v[10:11]
	s_cmp_lt_i32 s9, s2
	global_store_b64 v[24:25], v[16:17], off
	s_wait_loadcnt 0x7
	scratch_store_b128 off, v[92:95], off offset:1016 ; 16-byte Folded Spill
	s_wait_loadcnt 0x6
	scratch_store_b128 off, v[96:99], off offset:1032 ; 16-byte Folded Spill
	;; [unrolled: 2-line block ×3, first 2 shown]
	s_wait_loadcnt 0x4
	s_clause 0x3
	scratch_store_b128 off, v[104:107], off offset:1064
	scratch_store_b64 off, v[22:23], off offset:1632
	scratch_store_b64 off, v[24:25], off offset:1640
	scratch_store_b128 off, v[64:67], off offset:800
	s_wait_loadcnt 0x0
	s_clause 0x6
	scratch_store_b128 off, v[42:45], off offset:400
	scratch_store_b128 off, v[76:79], off offset:816
	;; [unrolled: 1-line block ×4, first 2 shown]
	scratch_store_b64 off, v[16:17], off offset:864
	scratch_store_b128 off, v[46:49], off offset:848
	scratch_store_b128 off, v[108:111], off offset:416
	s_cbranch_scc1 .LBB0_28
; %bb.27:                               ;   in Loop: Header=BB0_21 Depth=1
	v_frexp_mant_f64_e32 v[0:1], v[16:17]
	s_wait_xcnt 0xf
	v_frexp_exp_i32_f64_e32 v2, v[16:17]
	s_delay_alu instid0(VALU_DEP_2) | instskip(SKIP_2) | instid1(VALU_DEP_3)
	v_cmp_gt_f64_e32 vcc_lo, s[4:5], v[0:1]
	v_cndmask_b32_e64 v3, 0, 1, vcc_lo
	s_wait_xcnt 0x8
	v_subrev_co_ci_u32_e64 v24, null, 0, v2, vcc_lo
	v_cmp_class_f64_e64 vcc_lo, v[16:17], 0x204
	s_delay_alu instid0(VALU_DEP_3) | instskip(NEXT) | instid1(VALU_DEP_1)
	v_ldexp_f64 v[0:1], v[0:1], v3
	v_add_f64_e32 v[4:5], 1.0, v[0:1]
	v_add_f64_e32 v[2:3], -1.0, v[0:1]
	s_delay_alu instid0(VALU_DEP_2) | instskip(NEXT) | instid1(VALU_DEP_1)
	v_add_f64_e32 v[14:15], -1.0, v[4:5]
	v_add_f64_e64 v[0:1], v[0:1], -v[14:15]
	v_rcp_f64_e32 v[14:15], v[4:5]
	v_nop
	s_delay_alu instid0(TRANS32_DEP_1) | instskip(NEXT) | instid1(VALU_DEP_1)
	v_fma_f64 v[18:19], -v[4:5], v[14:15], 1.0
	v_fmac_f64_e32 v[14:15], v[18:19], v[14:15]
	s_delay_alu instid0(VALU_DEP_1) | instskip(NEXT) | instid1(VALU_DEP_1)
	v_fma_f64 v[18:19], -v[4:5], v[14:15], 1.0
	v_fmac_f64_e32 v[14:15], v[18:19], v[14:15]
	s_delay_alu instid0(VALU_DEP_1) | instskip(NEXT) | instid1(VALU_DEP_1)
	v_mul_f64_e32 v[18:19], v[2:3], v[14:15]
	v_mul_f64_e32 v[20:21], v[4:5], v[18:19]
	s_delay_alu instid0(VALU_DEP_1) | instskip(NEXT) | instid1(VALU_DEP_1)
	v_fma_f64 v[4:5], v[18:19], v[4:5], -v[20:21]
	v_fmac_f64_e32 v[4:5], v[18:19], v[0:1]
	s_delay_alu instid0(VALU_DEP_1) | instskip(NEXT) | instid1(VALU_DEP_1)
	v_add_f64_e32 v[0:1], v[20:21], v[4:5]
	v_add_f64_e64 v[22:23], v[2:3], -v[0:1]
	v_add_f64_e64 v[20:21], v[0:1], -v[20:21]
	s_delay_alu instid0(VALU_DEP_2) | instskip(NEXT) | instid1(VALU_DEP_1)
	v_add_f64_e64 v[2:3], v[2:3], -v[22:23]
	v_add_f64_e64 v[0:1], v[2:3], -v[0:1]
	s_delay_alu instid0(VALU_DEP_3) | instskip(NEXT) | instid1(VALU_DEP_1)
	v_add_f64_e64 v[2:3], v[20:21], -v[4:5]
	v_add_f64_e32 v[0:1], v[2:3], v[0:1]
	s_delay_alu instid0(VALU_DEP_1) | instskip(NEXT) | instid1(VALU_DEP_1)
	v_add_f64_e32 v[0:1], v[22:23], v[0:1]
	v_mul_f64_e32 v[0:1], v[14:15], v[0:1]
	v_mov_b64_e32 v[14:15], 0x3fc385386b47b09a
	s_delay_alu instid0(VALU_DEP_2) | instskip(NEXT) | instid1(VALU_DEP_1)
	v_add_f64_e32 v[2:3], v[18:19], v[0:1]
	v_add_f64_e64 v[4:5], v[2:3], -v[18:19]
	v_ldexp_f64 v[18:19], v[2:3], 1
	s_delay_alu instid0(VALU_DEP_2) | instskip(SKIP_1) | instid1(VALU_DEP_2)
	v_add_f64_e64 v[0:1], v[0:1], -v[4:5]
	v_mul_f64_e32 v[4:5], v[2:3], v[2:3]
	v_ldexp_f64 v[0:1], v[0:1], 1
	s_delay_alu instid0(VALU_DEP_2) | instskip(SKIP_1) | instid1(VALU_DEP_2)
	v_fmamk_f64 v[14:15], v[4:5], 0x3fc3ab76bf559e2b, v[14:15]
	v_mul_f64_e32 v[2:3], v[2:3], v[4:5]
	v_fmaak_f64 v[14:15], v[4:5], v[14:15], 0x3fc7474dd7f4df2e
	s_delay_alu instid0(VALU_DEP_1) | instskip(NEXT) | instid1(VALU_DEP_1)
	v_fmaak_f64 v[14:15], v[4:5], v[14:15], 0x3fcc71c016291751
	v_fmaak_f64 v[14:15], v[4:5], v[14:15], 0x3fd249249b27acf1
	s_delay_alu instid0(VALU_DEP_1) | instskip(NEXT) | instid1(VALU_DEP_1)
	v_fmaak_f64 v[14:15], v[4:5], v[14:15], 0x3fd99999998ef7b6
	v_fmaak_f64 v[14:15], v[4:5], v[14:15], 0x3fe5555555555780
	s_delay_alu instid0(VALU_DEP_1) | instskip(NEXT) | instid1(VALU_DEP_1)
	v_mul_f64_e32 v[2:3], v[2:3], v[14:15]
	v_add_f64_e32 v[4:5], v[18:19], v[2:3]
	s_delay_alu instid0(VALU_DEP_1) | instskip(NEXT) | instid1(VALU_DEP_1)
	v_add_f64_e64 v[14:15], v[4:5], -v[18:19]
	v_add_f64_e64 v[2:3], v[2:3], -v[14:15]
	s_delay_alu instid0(VALU_DEP_1) | instskip(NEXT) | instid1(VALU_DEP_1)
	v_add_f64_e32 v[0:1], v[0:1], v[2:3]
	v_add_f64_e32 v[2:3], v[4:5], v[0:1]
	s_delay_alu instid0(VALU_DEP_1) | instskip(NEXT) | instid1(VALU_DEP_1)
	v_add_f64_e64 v[4:5], v[2:3], -v[4:5]
	v_add_f64_e64 v[0:1], v[0:1], -v[4:5]
	v_cvt_f64_i32_e32 v[4:5], v24
	s_delay_alu instid0(VALU_DEP_1) | instskip(NEXT) | instid1(VALU_DEP_1)
	v_mul_f64_e32 v[14:15], 0x3fe62e42fefa39ef, v[4:5]
	v_fma_f64 v[18:19], v[4:5], s[6:7], -v[14:15]
	s_delay_alu instid0(VALU_DEP_1) | instskip(NEXT) | instid1(VALU_DEP_1)
	v_fmac_f64_e32 v[18:19], 0x3c7abc9e3b39803f, v[4:5]
	v_add_f64_e32 v[4:5], v[14:15], v[18:19]
	s_delay_alu instid0(VALU_DEP_1) | instskip(NEXT) | instid1(VALU_DEP_1)
	v_add_f64_e64 v[14:15], v[4:5], -v[14:15]
	v_add_f64_e64 v[14:15], v[18:19], -v[14:15]
	v_add_f64_e32 v[18:19], v[4:5], v[2:3]
	s_delay_alu instid0(VALU_DEP_1) | instskip(NEXT) | instid1(VALU_DEP_1)
	v_add_f64_e64 v[20:21], v[18:19], -v[4:5]
	v_add_f64_e64 v[22:23], v[18:19], -v[20:21]
	;; [unrolled: 1-line block ×3, first 2 shown]
	s_delay_alu instid0(VALU_DEP_2) | instskip(NEXT) | instid1(VALU_DEP_1)
	v_add_f64_e64 v[4:5], v[4:5], -v[22:23]
	v_add_f64_e32 v[2:3], v[2:3], v[4:5]
	v_add_f64_e32 v[4:5], v[14:15], v[0:1]
	s_delay_alu instid0(VALU_DEP_1) | instskip(NEXT) | instid1(VALU_DEP_3)
	v_add_f64_e64 v[20:21], v[4:5], -v[14:15]
	v_add_f64_e32 v[2:3], v[4:5], v[2:3]
	s_delay_alu instid0(VALU_DEP_2) | instskip(SKIP_1) | instid1(VALU_DEP_3)
	v_add_f64_e64 v[22:23], v[4:5], -v[20:21]
	v_add_f64_e64 v[0:1], v[0:1], -v[20:21]
	v_add_f64_e32 v[4:5], v[18:19], v[2:3]
	s_delay_alu instid0(VALU_DEP_3) | instskip(NEXT) | instid1(VALU_DEP_1)
	v_add_f64_e64 v[14:15], v[14:15], -v[22:23]
	v_add_f64_e32 v[0:1], v[0:1], v[14:15]
	s_delay_alu instid0(VALU_DEP_3) | instskip(NEXT) | instid1(VALU_DEP_1)
	v_add_f64_e64 v[14:15], v[4:5], -v[18:19]
	v_add_f64_e64 v[2:3], v[2:3], -v[14:15]
	s_delay_alu instid0(VALU_DEP_1) | instskip(SKIP_2) | instid1(VALU_DEP_1)
	v_add_f64_e32 v[0:1], v[0:1], v[2:3]
	scratch_load_b64 v[2:3], off, off offset:2472 ; 8-byte Folded Reload
	v_add_f64_e32 v[0:1], v[4:5], v[0:1]
	v_dual_cndmask_b32 v0, v0, v16 :: v_dual_cndmask_b32 v1, v1, v17
	v_cmp_ngt_f64_e32 vcc_lo, 0, v[16:17]
	s_delay_alu instid0(VALU_DEP_2) | instskip(SKIP_1) | instid1(VALU_DEP_4)
	v_cndmask_b32_e32 v1, 0x7ff80000, v1, vcc_lo
	v_cmp_nge_f64_e32 vcc_lo, 0, v[16:17]
	v_cndmask_b32_e32 v0, 0, v0, vcc_lo
	v_cmp_neq_f64_e32 vcc_lo, 0, v[16:17]
	s_delay_alu instid0(VALU_DEP_4) | instskip(SKIP_1) | instid1(VALU_DEP_1)
	v_cndmask_b32_e32 v1, 0xfff00000, v1, vcc_lo
	s_wait_loadcnt 0x0
	v_add_f64_e32 v[2:3], v[2:3], v[0:1]
	scratch_store_b64 off, v[2:3], off offset:2472 ; 8-byte Folded Spill
.LBB0_28:                               ;   in Loop: Header=BB0_21 Depth=1
	s_clause 0x8
	scratch_load_b128 v[10:13], off, off offset:288
	scratch_load_b128 v[4:7], off, off offset:272
	;; [unrolled: 1-line block ×9, first 2 shown]
	v_mov_b64_e32 v[98:99], v[28:29]
	v_mov_b64_e32 v[96:97], v[26:27]
	s_clause 0x1
	scratch_load_b128 v[104:107], off, off offset:352
	scratch_load_b128 v[100:103], off, off offset:64
	s_and_not1_b32 vcc_lo, exec_lo, s10
	s_wait_loadcnt 0xa
	v_fma_f64 v[14:15], v[10:11], v[38:39], 0
	v_fma_f64 v[2:3], v[12:13], v[38:39], 0
	s_wait_loadcnt 0x8
	v_fma_f64 v[8:9], v[76:77], v[38:39], 0
	v_fma_f64 v[24:25], v[78:79], v[38:39], 0
	s_wait_loadcnt 0x7
	v_fma_f64 v[54:55], v[46:47], v[38:39], 0
	v_fma_f64 v[94:95], v[48:49], v[38:39], 0
	v_fma_f64 v[68:69], v[4:5], v[38:39], 0
	v_fma_f64 v[92:93], v[6:7], v[38:39], 0
	v_mov_b64_e32 v[28:29], v[12:13]
	v_mov_b64_e32 v[26:27], v[10:11]
	v_fma_f64 v[80:81], v[10:11], v[60:61], 0
	v_fma_f64 v[82:83], v[12:13], v[60:61], 0
	v_mov_b64_e32 v[20:21], v[46:47]
	v_mov_b64_e32 v[22:23], v[48:49]
	s_wait_loadcnt 0x5
	v_mov_b64_e32 v[36:37], v[18:19]
	v_fma_f64 v[112:113], v[28:29], v[86:87], 0
	v_fma_f64 v[56:57], v[26:27], v[86:87], 0
	v_mov_b64_e32 v[34:35], v[16:17]
	v_fma_f64 v[10:11], v[76:77], v[60:61], 0
	v_fma_f64 v[0:1], v[78:79], v[60:61], 0
	v_mov_b64_e32 v[52:53], v[22:23]
	v_mov_b64_e32 v[50:51], v[20:21]
	v_fma_f64 v[32:33], v[46:47], v[60:61], 0
	v_fma_f64 v[74:75], v[48:49], v[60:61], 0
	;; [unrolled: 1-line block ×9, first 2 shown]
	v_fmac_f64_e32 v[14:15], v[16:17], v[40:41]
	v_fmac_f64_e32 v[2:3], v[18:19], v[40:41]
	s_wait_loadcnt 0x3
	v_fmac_f64_e32 v[8:9], v[118:119], v[40:41]
	v_fmac_f64_e32 v[24:25], v[120:121], v[40:41]
	v_fmac_f64_e32 v[54:55], v[64:65], v[40:41]
	v_fmac_f64_e32 v[94:95], v[66:67], v[40:41]
	v_fmac_f64_e32 v[68:69], v[96:97], v[40:41]
	v_fmac_f64_e32 v[92:93], v[98:99], v[40:41]
	scratch_load_b128 v[38:41], off, off offset:672 th:TH_LOAD_LU ; 16-byte Folded Reload
	v_fmac_f64_e32 v[80:81], v[16:17], v[62:63]
	v_fmac_f64_e32 v[82:83], v[18:19], v[62:63]
	;; [unrolled: 1-line block ×4, first 2 shown]
	v_fma_f64 v[16:17], v[20:21], v[86:87], 0
	v_mov_b64_e32 v[86:87], v[6:7]
	v_mov_b64_e32 v[84:85], v[4:5]
	scratch_load_b128 v[4:7], off, off offset:80 ; 16-byte Folded Reload
	v_fmac_f64_e32 v[10:11], v[118:119], v[62:63]
	v_fmac_f64_e32 v[32:33], v[64:65], v[62:63]
	;; [unrolled: 1-line block ×14, first 2 shown]
	scratch_load_b128 v[88:91], off, off offset:144 ; 16-byte Folded Reload
	s_wait_loadcnt 0x5
	v_fmac_f64_e32 v[14:15], v[114:115], v[124:125]
	v_fmac_f64_e32 v[2:3], v[116:117], v[124:125]
	s_wait_loadcnt 0x2
	v_fma_f64 v[18:19], v[26:27], v[38:39], 0
	v_fma_f64 v[20:21], v[28:29], v[38:39], 0
	;; [unrolled: 1-line block ×5, first 2 shown]
	v_mov_b64_e32 v[26:27], v[2:3]
	v_mov_b64_e32 v[50:51], v[60:61]
	s_wait_loadcnt 0x1
	v_fmac_f64_e32 v[8:9], v[4:5], v[122:123]
	v_fmac_f64_e32 v[24:25], v[6:7], v[122:123]
	;; [unrolled: 1-line block ×4, first 2 shown]
	v_fma_f64 v[34:35], v[76:77], v[38:39], 0
	v_fma_f64 v[36:37], v[84:85], v[38:39], 0
	;; [unrolled: 1-line block ×3, first 2 shown]
	v_fmac_f64_e32 v[22:23], v[120:121], v[40:41]
	v_fmac_f64_e32 v[28:29], v[64:65], v[40:41]
	;; [unrolled: 1-line block ×3, first 2 shown]
	s_clause 0x1
	scratch_load_b128 v[64:67], off, off offset:336
	scratch_load_b128 v[84:87], off, off offset:48
	v_fmac_f64_e32 v[54:55], v[104:105], v[122:123]
	v_fmac_f64_e32 v[94:95], v[106:107], v[122:123]
	;; [unrolled: 1-line block ×7, first 2 shown]
	scratch_load_b128 v[40:43], off, off offset:416 th:TH_LOAD_LU ; 16-byte Folded Reload
	v_mov_b64_e32 v[2:3], v[8:9]
	v_mov_b64_e32 v[62:63], v[24:25]
	s_wait_loadcnt 0x2
	v_fmac_f64_e32 v[68:69], v[64:65], v[122:123]
	v_fmac_f64_e32 v[92:93], v[66:67], v[122:123]
	s_wait_loadcnt 0x1
	v_fmac_f64_e32 v[54:55], v[84:85], v[124:125]
	v_fmac_f64_e32 v[94:95], v[86:87], v[124:125]
	;; [unrolled: 3-line block ×3, first 2 shown]
	v_fmac_f64_e32 v[82:83], v[110:111], v[40:41]
	v_fmac_f64_e32 v[68:69], v[88:89], v[124:125]
	v_fmac_f64_e32 v[92:93], v[90:91], v[124:125]
	v_mov_b64_e32 v[124:125], v[6:7]
	v_mov_b64_e32 v[122:123], v[4:5]
	v_fmac_f64_e32 v[0:1], v[6:7], v[40:41]
	v_fmac_f64_e32 v[32:33], v[104:105], v[40:41]
	;; [unrolled: 1-line block ×13, first 2 shown]
	v_mov_b64_e32 v[4:5], v[10:11]
	scratch_load_b128 v[8:11], off, off offset:752 th:TH_LOAD_LU ; 16-byte Folded Reload
	s_wait_loadcnt 0x0
	v_fmac_f64_e32 v[56:57], v[108:109], v[8:9]
	v_fmac_f64_e32 v[112:113], v[110:111], v[8:9]
	v_fmac_f64_e32 v[126:127], v[122:123], v[8:9]
	v_fmac_f64_e32 v[12:13], v[124:125], v[8:9]
	v_fmac_f64_e32 v[16:17], v[104:105], v[8:9]
	v_fmac_f64_e32 v[50:51], v[106:107], v[8:9]
	v_fmac_f64_e32 v[72:73], v[64:65], v[8:9]
	v_fmac_f64_e32 v[48:49], v[66:67], v[8:9]
	v_fmac_f64_e32 v[56:57], v[114:115], v[10:11]
	v_fmac_f64_e32 v[112:113], v[116:117], v[10:11]
	v_fmac_f64_e32 v[126:127], v[100:101], v[10:11]
	v_fmac_f64_e32 v[12:13], v[102:103], v[10:11]
	v_fmac_f64_e32 v[16:17], v[84:85], v[10:11]
	v_fmac_f64_e32 v[50:51], v[86:87], v[10:11]
	v_fmac_f64_e32 v[72:73], v[88:89], v[10:11]
	v_fmac_f64_e32 v[48:49], v[90:91], v[10:11]
	scratch_load_b128 v[8:11], off, off offset:656 th:TH_LOAD_LU ; 16-byte Folded Reload
	s_wait_loadcnt 0x0
	v_fmac_f64_e32 v[18:19], v[108:109], v[8:9]
	v_fmac_f64_e32 v[20:21], v[110:111], v[8:9]
	;; [unrolled: 1-line block ×16, first 2 shown]
	s_clause 0x4
	scratch_load_b128 v[104:107], off, off offset:640
	scratch_load_b128 v[8:11], off, off offset:848 th:TH_LOAD_LU
	scratch_load_b128 v[40:43], off, off offset:96
	scratch_load_b128 v[58:61], off, off offset:256
	;; [unrolled: 1-line block ×3, first 2 shown]
	s_wait_loadcnt 0x3
	v_fmac_f64_e32 v[14:15], v[104:105], v[8:9]
	s_wait_loadcnt 0x2
	v_mov_b64_e32 v[86:87], v[42:43]
	v_fmac_f64_e32 v[2:3], v[40:41], v[8:9]
	v_fmac_f64_e32 v[62:63], v[42:43], v[8:9]
	v_mov_b64_e32 v[84:85], v[40:41]
	scratch_load_b128 v[40:43], off, off offset:128 ; 16-byte Folded Reload
	v_fmac_f64_e32 v[26:27], v[106:107], v[8:9]
	s_wait_loadcnt 0x2
	v_fmac_f64_e32 v[68:69], v[58:59], v[8:9]
	v_fmac_f64_e32 v[92:93], v[60:61], v[8:9]
	v_mov_b64_e32 v[102:103], v[60:61]
	v_mov_b64_e32 v[100:101], v[58:59]
	s_wait_loadcnt 0x0
	v_fmac_f64_e32 v[54:55], v[40:41], v[8:9]
	v_fmac_f64_e32 v[94:95], v[42:43], v[8:9]
	scratch_load_b128 v[6:9], off, off offset:224 ; 16-byte Folded Reload
	v_fmac_f64_e32 v[54:55], v[96:97], v[10:11]
	v_fmac_f64_e32 v[94:95], v[98:99], v[10:11]
	s_wait_loadcnt 0x0
	v_fmac_f64_e32 v[26:27], v[8:9], v[10:11]
	v_mov_b64_e32 v[110:111], v[8:9]
	v_fmac_f64_e32 v[14:15], v[6:7], v[10:11]
	v_mov_b64_e32 v[108:109], v[6:7]
	scratch_load_b128 v[6:9], off, off offset:240 ; 16-byte Folded Reload
	v_mov_b64_e32 v[58:59], v[26:27]
	scratch_load_b128 v[24:27], off, off offset:32 ; 16-byte Folded Reload
	s_wait_loadcnt 0x1
	v_mov_b64_e32 v[116:117], v[8:9]
	v_fmac_f64_e32 v[2:3], v[6:7], v[10:11]
	v_fmac_f64_e32 v[62:63], v[8:9], v[10:11]
	v_mov_b64_e32 v[114:115], v[6:7]
	s_wait_loadcnt 0x0
	v_fmac_f64_e32 v[68:69], v[24:25], v[10:11]
	v_fmac_f64_e32 v[92:93], v[26:27], v[10:11]
	scratch_load_b128 v[8:11], off, off offset:624 th:TH_LOAD_LU ; 16-byte Folded Reload
	s_wait_loadcnt 0x0
	v_fmac_f64_e32 v[4:5], v[84:85], v[8:9]
	v_fmac_f64_e32 v[0:1], v[86:87], v[8:9]
	;; [unrolled: 1-line block ×16, first 2 shown]
	v_mov_b64_e32 v[70:71], v[4:5]
	scratch_load_b128 v[4:7], off, off offset:608 th:TH_LOAD_LU ; 16-byte Folded Reload
	s_wait_loadcnt 0x0
	v_fmac_f64_e32 v[56:57], v[104:105], v[4:5]
	v_fmac_f64_e32 v[112:113], v[106:107], v[4:5]
	;; [unrolled: 1-line block ×16, first 2 shown]
	scratch_load_b128 v[4:7], off, off offset:592 th:TH_LOAD_LU ; 16-byte Folded Reload
	s_wait_loadcnt 0x0
	v_fmac_f64_e32 v[18:19], v[104:105], v[4:5]
	v_fmac_f64_e32 v[20:21], v[106:107], v[4:5]
	;; [unrolled: 1-line block ×8, first 2 shown]
	v_mov_b64_e32 v[4:5], v[2:3]
	v_mov_b64_e32 v[2:3], v[92:93]
	v_fmac_f64_e32 v[18:19], v[108:109], v[6:7]
	v_fmac_f64_e32 v[20:21], v[110:111], v[6:7]
	;; [unrolled: 1-line block ×8, first 2 shown]
	s_clause 0x2
	scratch_load_b128 v[42:45], off, off offset:1136
	scratch_load_b128 v[6:9], off, off offset:576 th:TH_LOAD_LU
	scratch_load_b128 v[114:117], off, off offset:1120
	v_mov_b64_e32 v[24:25], v[0:1]
	v_mov_b64_e32 v[0:1], v[94:95]
	scratch_load_b128 v[92:95], off, off offset:984 ; 16-byte Folded Reload
	v_mov_b64_e32 v[26:27], v[62:63]
	s_clause 0x3
	scratch_load_b128 v[60:63], off, off offset:1152
	scratch_load_b128 v[108:111], off, off offset:16
	scratch_load_b128 v[122:125], off, off
	scratch_load_b128 v[84:87], off, off offset:1000
	s_wait_loadcnt 0x6
	v_fmac_f64_e32 v[14:15], v[42:43], v[6:7]
	s_wait_loadcnt 0x5
	v_fmac_f64_e32 v[4:5], v[114:115], v[6:7]
	v_fmac_f64_e32 v[58:59], v[44:45], v[6:7]
	;; [unrolled: 1-line block ×3, first 2 shown]
	s_wait_loadcnt 0x3
	v_fmac_f64_e32 v[54:55], v[60:61], v[6:7]
	v_fmac_f64_e32 v[0:1], v[62:63], v[6:7]
	s_wait_loadcnt 0x2
	v_fmac_f64_e32 v[68:69], v[108:109], v[6:7]
	v_fmac_f64_e32 v[2:3], v[110:111], v[6:7]
	;; [unrolled: 1-line block ×4, first 2 shown]
	s_wait_loadcnt 0x1
	v_fmac_f64_e32 v[54:55], v[122:123], v[8:9]
	v_fmac_f64_e32 v[0:1], v[124:125], v[8:9]
	s_clause 0x1
	scratch_store_b64 off, v[4:5], off offset:1352
	scratch_load_b128 v[4:7], off, off offset:384
	s_wait_loadcnt 0x1
	v_fmac_f64_e32 v[14:15], v[84:85], v[8:9]
	v_fmac_f64_e32 v[58:59], v[86:87], v[8:9]
	s_wait_loadcnt 0x0
	v_fmac_f64_e32 v[68:69], v[4:5], v[8:9]
	v_fmac_f64_e32 v[2:3], v[6:7], v[8:9]
	scratch_load_b128 v[8:11], off, off offset:560 th:TH_LOAD_LU ; 16-byte Folded Reload
	s_wait_loadcnt 0x0
	v_fmac_f64_e32 v[80:81], v[42:43], v[8:9]
	v_fmac_f64_e32 v[82:83], v[44:45], v[8:9]
	v_fmac_f64_e32 v[70:71], v[114:115], v[8:9]
	v_fmac_f64_e32 v[24:25], v[116:117], v[8:9]
	v_fmac_f64_e32 v[32:33], v[60:61], v[8:9]
	v_fmac_f64_e32 v[74:75], v[62:63], v[8:9]
	v_fmac_f64_e32 v[46:47], v[108:109], v[8:9]
	v_fmac_f64_e32 v[30:31], v[110:111], v[8:9]
	v_fmac_f64_e32 v[80:81], v[84:85], v[10:11]
	v_fmac_f64_e32 v[82:83], v[86:87], v[10:11]
	v_fmac_f64_e32 v[70:71], v[92:93], v[10:11]
	v_fmac_f64_e32 v[24:25], v[94:95], v[10:11]
	v_fmac_f64_e32 v[32:33], v[122:123], v[10:11]
	v_fmac_f64_e32 v[74:75], v[124:125], v[10:11]
	v_fmac_f64_e32 v[46:47], v[4:5], v[10:11]
	v_fmac_f64_e32 v[30:31], v[6:7], v[10:11]
	scratch_load_b128 v[8:11], off, off offset:736 th:TH_LOAD_LU ; 16-byte Folded Reload
	s_wait_loadcnt 0x0
	v_fmac_f64_e32 v[56:57], v[42:43], v[8:9]
	v_fmac_f64_e32 v[112:113], v[44:45], v[8:9]
	;; [unrolled: 1-line block ×16, first 2 shown]
	s_clause 0xe
	scratch_load_b128 v[8:11], off, off offset:448 th:TH_LOAD_LU
	scratch_store_b64 off, v[14:15], off offset:1384
	scratch_store_b64 off, v[82:83], off offset:1400
	;; [unrolled: 1-line block ×14, first 2 shown]
	s_wait_xcnt 0x3
	v_mov_b64_e32 v[14:15], v[64:65]
	v_mov_b64_e32 v[16:17], v[66:67]
	s_wait_loadcnt 0x0
	v_fmac_f64_e32 v[18:19], v[42:43], v[8:9]
	v_fmac_f64_e32 v[20:21], v[44:45], v[8:9]
	;; [unrolled: 1-line block ×16, first 2 shown]
	s_clause 0x8
	scratch_store_b64 off, v[58:59], off offset:1360
	scratch_store_b64 off, v[12:13], off offset:1368
	;; [unrolled: 1-line block ×9, first 2 shown]
	s_wait_xcnt 0x4
	v_mov_b64_e32 v[68:69], v[76:77]
	v_mov_b64_e32 v[70:71], v[78:79]
	;; [unrolled: 1-line block ×4, first 2 shown]
	s_clause 0x7
	scratch_store_b64 off, v[18:19], off offset:1432
	scratch_store_b64 off, v[20:21], off offset:1416
	;; [unrolled: 1-line block ×8, first 2 shown]
	s_wait_xcnt 0x0
	v_mov_b64_e32 v[36:37], v[96:97]
	v_mov_b64_e32 v[38:39], v[98:99]
	s_clause 0x5
	scratch_load_b128 v[96:99], off, off offset:688 th:TH_LOAD_LU
	scratch_load_b128 v[18:21], off, off offset:288
	scratch_load_b128 v[88:91], off, off offset:304
	;; [unrolled: 1-line block ×5, first 2 shown]
	s_wait_loadcnt 0x5
	v_fma_f64 v[76:77], v[68:69], v[96:97], 0
	v_fma_f64 v[22:23], v[70:71], v[96:97], 0
	s_wait_loadcnt 0x4
	v_fma_f64 v[28:29], v[18:19], v[96:97], 0
	v_fma_f64 v[12:13], v[20:21], v[96:97], 0
	;; [unrolled: 3-line block ×3, first 2 shown]
	v_mov_b64_e32 v[8:9], v[56:57]
	v_mov_b64_e32 v[10:11], v[58:59]
	s_wait_loadcnt 0x1
	v_mov_b64_e32 v[58:59], v[52:53]
	v_mov_b64_e32 v[56:57], v[50:51]
	v_fmac_f64_e32 v[76:77], v[118:119], v[98:99]
	v_fmac_f64_e32 v[22:23], v[120:121], v[98:99]
	scratch_load_b128 v[118:121], off, off offset:192 ; 16-byte Folded Reload
	v_fmac_f64_e32 v[28:29], v[50:51], v[98:99]
	v_fmac_f64_e32 v[12:13], v[52:53], v[98:99]
	s_wait_loadcnt 0x1
	v_fmac_f64_e32 v[82:83], v[64:65], v[98:99]
	v_fmac_f64_e32 v[30:31], v[66:67], v[98:99]
	s_wait_loadcnt 0x0
	v_fma_f64 v[112:113], v[118:119], v[96:97], 0
	v_fma_f64 v[74:75], v[120:121], v[96:97], 0
	s_delay_alu instid0(VALU_DEP_2) | instskip(NEXT) | instid1(VALU_DEP_2)
	v_fmac_f64_e32 v[112:113], v[88:89], v[98:99]
	v_fmac_f64_e32 v[74:75], v[90:91], v[98:99]
	scratch_load_b128 v[96:99], off, off offset:528 th:TH_LOAD_LU ; 16-byte Folded Reload
	s_wait_loadcnt 0x0
	v_fma_f64 v[48:49], v[18:19], v[96:97], 0
	v_fma_f64 v[52:53], v[20:21], v[96:97], 0
	;; [unrolled: 1-line block ×8, first 2 shown]
	v_mov_b64_e32 v[20:21], v[16:17]
	v_mov_b64_e32 v[18:19], v[14:15]
	;; [unrolled: 1-line block ×4, first 2 shown]
	v_fmac_f64_e32 v[48:49], v[56:57], v[98:99]
	v_fmac_f64_e32 v[52:53], v[58:59], v[98:99]
	;; [unrolled: 1-line block ×8, first 2 shown]
	s_clause 0x5
	scratch_load_b128 v[98:101], off, off offset:720 th:TH_LOAD_LU
	scratch_load_b128 v[0:3], off, off offset:208
	scratch_load_b128 v[4:7], off, off offset:352
	;; [unrolled: 1-line block ×5, first 2 shown]
	s_wait_loadcnt 0x5
	v_fmac_f64_e32 v[82:83], v[18:19], v[98:99]
	v_fmac_f64_e32 v[30:31], v[20:21], v[98:99]
	scratch_load_b128 v[18:21], off, off offset:160 ; 16-byte Folded Reload
	s_wait_loadcnt 0x5
	v_fmac_f64_e32 v[28:29], v[0:1], v[98:99]
	v_fmac_f64_e32 v[12:13], v[2:3], v[98:99]
	s_wait_loadcnt 0x4
	v_fmac_f64_e32 v[112:113], v[4:5], v[98:99]
	v_fmac_f64_e32 v[74:75], v[6:7], v[98:99]
	s_wait_loadcnt 0x1
	s_delay_alu instid0(VALU_DEP_2) | instskip(NEXT) | instid1(VALU_DEP_2)
	v_fmac_f64_e32 v[112:113], v[14:15], v[100:101]
	v_fmac_f64_e32 v[74:75], v[16:17], v[100:101]
	s_wait_loadcnt 0x0
	v_mov_b64_e32 v[34:35], v[20:21]
	v_fmac_f64_e32 v[28:29], v[18:19], v[100:101]
	v_fmac_f64_e32 v[12:13], v[20:21], v[100:101]
	v_mov_b64_e32 v[32:33], v[18:19]
	scratch_load_b128 v[18:21], off, off offset:144 ; 16-byte Folded Reload
	v_fmac_f64_e32 v[76:77], v[8:9], v[98:99]
	v_fmac_f64_e32 v[22:23], v[10:11], v[98:99]
	s_delay_alu instid0(VALU_DEP_2) | instskip(NEXT) | instid1(VALU_DEP_2)
	v_fmac_f64_e32 v[76:77], v[24:25], v[100:101]
	v_fmac_f64_e32 v[22:23], v[26:27], v[100:101]
	s_wait_loadcnt 0x0
	v_fmac_f64_e32 v[82:83], v[18:19], v[100:101]
	v_fmac_f64_e32 v[30:31], v[20:21], v[100:101]
	scratch_load_b128 v[98:101], off, off offset:704 th:TH_LOAD_LU ; 16-byte Folded Reload
	s_wait_loadcnt 0x0
	v_fmac_f64_e32 v[48:49], v[0:1], v[98:99]
	v_fmac_f64_e32 v[52:53], v[2:3], v[98:99]
	;; [unrolled: 1-line block ×16, first 2 shown]
	s_clause 0x1
	scratch_load_b128 v[98:101], off, off offset:832 th:TH_LOAD_LU
	scratch_load_b128 v[18:21], off, off offset:96
	s_wait_loadcnt 0x1
	v_fmac_f64_e32 v[28:29], v[104:105], v[98:99]
	s_wait_loadcnt 0x0
	v_mov_b64_e32 v[0:1], v[18:19]
	v_fmac_f64_e32 v[76:77], v[18:19], v[98:99]
	v_fmac_f64_e32 v[22:23], v[20:21], v[98:99]
	v_mov_b64_e32 v[2:3], v[20:21]
	scratch_load_b128 v[18:21], off, off offset:128 ; 16-byte Folded Reload
	v_fmac_f64_e32 v[12:13], v[106:107], v[98:99]
	s_wait_loadcnt 0x0
	v_mov_b64_e32 v[34:35], v[20:21]
	v_fmac_f64_e32 v[112:113], v[18:19], v[98:99]
	v_fmac_f64_e32 v[74:75], v[20:21], v[98:99]
	v_mov_b64_e32 v[32:33], v[18:19]
	scratch_load_b128 v[18:21], off, off offset:256 ; 16-byte Folded Reload
	v_fmac_f64_e32 v[112:113], v[36:37], v[100:101]
	v_fmac_f64_e32 v[74:75], v[38:39], v[100:101]
	s_wait_loadcnt 0x0
	v_mov_b64_e32 v[8:9], v[18:19]
	v_fmac_f64_e32 v[82:83], v[18:19], v[98:99]
	v_fmac_f64_e32 v[30:31], v[20:21], v[98:99]
	v_mov_b64_e32 v[10:11], v[20:21]
	scratch_load_b128 v[18:21], off, off offset:224 ; 16-byte Folded Reload
	s_wait_loadcnt 0x0
	v_mov_b64_e32 v[14:15], v[18:19]
	v_fmac_f64_e32 v[28:29], v[18:19], v[100:101]
	v_fmac_f64_e32 v[12:13], v[20:21], v[100:101]
	v_mov_b64_e32 v[16:17], v[20:21]
	scratch_load_b128 v[18:21], off, off offset:240 ; 16-byte Folded Reload
	;; [unrolled: 6-line block ×3, first 2 shown]
	s_wait_loadcnt 0x0
	v_fmac_f64_e32 v[82:83], v[18:19], v[100:101]
	scratch_load_b128 v[18:21], off, off offset:32 ; 16-byte Folded Reload
	s_wait_loadcnt 0x0
	v_fmac_f64_e32 v[30:31], v[20:21], v[100:101]
	s_clause 0x1
	scratch_load_b128 v[98:101], off, off offset:512 th:TH_LOAD_LU
	scratch_load_b128 v[18:21], off, off offset:32
	s_wait_loadcnt 0x1
	v_fmac_f64_e32 v[70:71], v[32:33], v[98:99]
	v_fmac_f64_e32 v[126:127], v[34:35], v[98:99]
	;; [unrolled: 1-line block ×8, first 2 shown]
	v_mov_b64_e32 v[106:107], v[6:7]
	v_mov_b64_e32 v[104:105], v[4:5]
	v_fmac_f64_e32 v[70:71], v[36:37], v[100:101]
	v_fmac_f64_e32 v[126:127], v[38:39], v[100:101]
	scratch_load_b128 v[36:39], off, off offset:384 ; 16-byte Folded Reload
	s_wait_loadcnt 0x1
	v_fmac_f64_e32 v[102:103], v[18:19], v[100:101]
	scratch_load_b128 v[18:21], off, off offset:32 ; 16-byte Folded Reload
	v_fmac_f64_e32 v[48:49], v[14:15], v[100:101]
	v_fmac_f64_e32 v[52:53], v[16:17], v[100:101]
	;; [unrolled: 1-line block ×4, first 2 shown]
	s_wait_loadcnt 0x0
	v_fmac_f64_e32 v[80:81], v[20:21], v[100:101]
	scratch_load_b128 v[98:101], off, off offset:432 th:TH_LOAD_LU ; 16-byte Folded Reload
	s_wait_loadcnt 0x0
	v_fmac_f64_e32 v[28:29], v[42:43], v[98:99]
	v_fmac_f64_e32 v[12:13], v[44:45], v[98:99]
	;; [unrolled: 1-line block ×16, first 2 shown]
	s_clause 0x1
	scratch_load_b128 v[98:101], off, off offset:496 th:TH_LOAD_LU
	scratch_store_b64 off, v[22:23], off offset:1576
	v_mov_b64_e32 v[34:35], v[112:113]
	v_mov_b64_e32 v[112:113], v[28:29]
	scratch_store_b64 off, v[30:31], off offset:1512 ; 8-byte Folded Spill
	s_wait_loadcnt 0x0
	v_fmac_f64_e32 v[48:49], v[42:43], v[98:99]
	v_fmac_f64_e32 v[52:53], v[44:45], v[98:99]
	;; [unrolled: 1-line block ×16, first 2 shown]
	s_clause 0x3
	scratch_load_b128 v[98:101], off, off offset:784 th:TH_LOAD_LU
	scratch_load_b128 v[0:3], off, off offset:288
	scratch_load_b128 v[8:11], off, off offset:968
	;; [unrolled: 1-line block ×3, first 2 shown]
	s_wait_loadcnt 0x2
	v_mov_b64_e32 v[26:27], v[2:3]
	v_fma_f64 v[36:37], v[0:1], v[98:99], 0
	v_fma_f64 v[120:121], v[2:3], v[98:99], 0
	v_mov_b64_e32 v[24:25], v[0:1]
	scratch_load_b128 v[0:3], off, off offset:176 ; 16-byte Folded Reload
	s_wait_loadcnt 0x2
	v_fma_f64 v[72:73], v[8:9], v[98:99], 0
	v_fma_f64 v[38:39], v[10:11], v[98:99], 0
	v_mov_b64_e32 v[16:17], v[10:11]
	v_mov_b64_e32 v[14:15], v[8:9]
	s_wait_loadcnt 0x1
	s_wait_xcnt 0x5
	v_fma_f64 v[30:31], v[20:21], v[98:99], 0
	v_fma_f64 v[96:97], v[22:23], v[98:99], 0
	v_fmac_f64_e32 v[36:37], v[56:57], v[100:101]
	v_fmac_f64_e32 v[120:121], v[58:59], v[100:101]
	s_delay_alu instid0(VALU_DEP_4) | instskip(NEXT) | instid1(VALU_DEP_4)
	v_fmac_f64_e32 v[30:31], v[64:65], v[100:101]
	v_fmac_f64_e32 v[96:97], v[66:67], v[100:101]
	s_delay_alu instid0(VALU_DEP_2)
	v_mov_b64_e32 v[86:87], v[30:31]
	s_wait_loadcnt 0x0
	v_mov_b64_e32 v[10:11], v[2:3]
	v_fmac_f64_e32 v[72:73], v[0:1], v[100:101]
	v_fmac_f64_e32 v[38:39], v[2:3], v[100:101]
	v_mov_b64_e32 v[8:9], v[0:1]
	scratch_load_b128 v[0:3], off, off offset:192 ; 16-byte Folded Reload
	s_wait_loadcnt 0x0
	v_fma_f64 v[40:41], v[0:1], v[98:99], 0
	v_fma_f64 v[118:119], v[2:3], v[98:99], 0
	s_delay_alu instid0(VALU_DEP_2) | instskip(NEXT) | instid1(VALU_DEP_2)
	v_fmac_f64_e32 v[40:41], v[88:89], v[100:101]
	v_fmac_f64_e32 v[118:119], v[90:91], v[100:101]
	scratch_load_b128 v[98:101], off, off offset:768 th:TH_LOAD_LU ; 16-byte Folded Reload
	s_wait_loadcnt 0x0
	v_fma_f64 v[32:33], v[24:25], v[98:99], 0
	v_fma_f64 v[54:55], v[26:27], v[98:99], 0
	;; [unrolled: 1-line block ×8, first 2 shown]
	v_fmac_f64_e32 v[32:33], v[56:57], v[100:101]
	v_fmac_f64_e32 v[54:55], v[58:59], v[100:101]
	s_clause 0x1
	scratch_load_b128 v[18:21], off, off offset:816 th:TH_LOAD_LU
	scratch_load_b128 v[56:59], off, off offset:208
	v_fmac_f64_e32 v[84:85], v[64:65], v[100:101]
	v_fmac_f64_e32 v[0:1], v[66:67], v[100:101]
	s_clause 0x1
	scratch_load_b128 v[24:27], off, off offset:80
	scratch_load_b128 v[64:67], off, off offset:336
	v_fmac_f64_e32 v[14:15], v[8:9], v[100:101]
	v_fmac_f64_e32 v[50:51], v[10:11], v[100:101]
	scratch_load_b128 v[8:11], off, off offset:160 ; 16-byte Folded Reload
	v_fmac_f64_e32 v[30:31], v[88:89], v[100:101]
	v_fmac_f64_e32 v[46:47], v[90:91], v[100:101]
	s_clause 0x1
	scratch_load_b128 v[88:91], off, off offset:64
	scratch_load_b128 v[4:7], off, off offset:48
	v_mov_b64_e32 v[22:23], v[0:1]
	s_wait_loadcnt 0x6
	v_fmac_f64_e32 v[40:41], v[104:105], v[18:19]
	s_wait_loadcnt 0x5
	v_fmac_f64_e32 v[36:37], v[56:57], v[18:19]
	v_fmac_f64_e32 v[120:121], v[58:59], v[18:19]
	;; [unrolled: 1-line block ×3, first 2 shown]
	s_wait_loadcnt 0x4
	v_fmac_f64_e32 v[72:73], v[24:25], v[18:19]
	v_fmac_f64_e32 v[38:39], v[26:27], v[18:19]
	s_wait_loadcnt 0x3
	v_fmac_f64_e32 v[86:87], v[64:65], v[18:19]
	v_fmac_f64_e32 v[96:97], v[66:67], v[18:19]
	scratch_load_b128 v[16:19], off, off offset:144 ; 16-byte Folded Reload
	v_mov_b64_e32 v[100:101], v[66:67]
	v_mov_b64_e32 v[98:99], v[64:65]
	s_wait_loadcnt 0x1
	v_fmac_f64_e32 v[40:41], v[4:5], v[20:21]
	v_fmac_f64_e32 v[36:37], v[8:9], v[20:21]
	;; [unrolled: 1-line block ×6, first 2 shown]
	s_wait_loadcnt 0x0
	v_mov_b64_e32 v[66:67], v[18:19]
	v_fmac_f64_e32 v[86:87], v[16:17], v[20:21]
	v_fmac_f64_e32 v[96:97], v[18:19], v[20:21]
	v_mov_b64_e32 v[64:65], v[16:17]
	scratch_load_b128 v[18:21], off, off offset:480 th:TH_LOAD_LU ; 16-byte Folded Reload
	s_wait_loadcnt 0x0
	v_fmac_f64_e32 v[32:33], v[56:57], v[18:19]
	v_fmac_f64_e32 v[54:55], v[58:59], v[18:19]
	;; [unrolled: 1-line block ×6, first 2 shown]
	v_mov_b64_e32 v[26:27], v[76:77]
	v_fmac_f64_e32 v[84:85], v[98:99], v[18:19]
	v_fmac_f64_e32 v[22:23], v[100:101], v[18:19]
	v_mov_b64_e32 v[24:25], v[126:127]
	v_fmac_f64_e32 v[32:33], v[8:9], v[20:21]
	v_fmac_f64_e32 v[54:55], v[10:11], v[20:21]
	;; [unrolled: 1-line block ×5, first 2 shown]
	s_clause 0x3
	scratch_load_b64 v[90:91], off, off offset:1264
	scratch_load_b128 v[0:3], off, off offset:400 th:TH_LOAD_LU
	scratch_load_b128 v[4:7], off, off offset:640
	scratch_load_b128 v[8:11], off, off offset:96
	v_fmac_f64_e32 v[14:15], v[88:89], v[20:21]
	v_mov_b64_e32 v[88:89], v[78:79]
	v_fmac_f64_e32 v[84:85], v[64:65], v[20:21]
	v_fmac_f64_e32 v[22:23], v[66:67], v[20:21]
	s_clause 0x2
	scratch_load_b128 v[98:101], off, off offset:128
	scratch_load_b128 v[104:107], off, off offset:240
	;; [unrolled: 1-line block ×3, first 2 shown]
	s_wait_loadcnt 0x4
	v_fmac_f64_e32 v[36:37], v[4:5], v[0:1]
	s_wait_loadcnt 0x3
	v_mov_b64_e32 v[78:79], v[10:11]
	v_fmac_f64_e32 v[72:73], v[8:9], v[0:1]
	v_fmac_f64_e32 v[38:39], v[10:11], v[0:1]
	v_mov_b64_e32 v[76:77], v[8:9]
	scratch_load_b128 v[8:11], off, off offset:256 ; 16-byte Folded Reload
	v_fmac_f64_e32 v[120:121], v[6:7], v[0:1]
	s_wait_loadcnt 0x0
	v_mov_b64_e32 v[66:67], v[10:11]
	v_fmac_f64_e32 v[86:87], v[8:9], v[0:1]
	v_fmac_f64_e32 v[96:97], v[10:11], v[0:1]
	v_mov_b64_e32 v[64:65], v[8:9]
	scratch_load_b128 v[8:11], off, off offset:224 ; 16-byte Folded Reload
	s_wait_loadcnt 0x0
	v_mov_b64_e32 v[20:21], v[10:11]
	v_fmac_f64_e32 v[36:37], v[8:9], v[2:3]
	v_fmac_f64_e32 v[120:121], v[10:11], v[2:3]
	v_mov_b64_e32 v[18:19], v[8:9]
	scratch_load_b128 v[8:11], off, off offset:32 ; 16-byte Folded Reload
	v_fmac_f64_e32 v[40:41], v[98:99], v[0:1]
	v_fmac_f64_e32 v[118:119], v[100:101], v[0:1]
	s_wait_loadcnt 0x0
	v_fmac_f64_e32 v[86:87], v[8:9], v[2:3]
	scratch_load_b128 v[8:11], off, off offset:32 ; 16-byte Folded Reload
	v_fmac_f64_e32 v[72:73], v[104:105], v[2:3]
	v_fmac_f64_e32 v[38:39], v[106:107], v[2:3]
	v_mov_b64_e32 v[126:127], v[86:87]
	s_wait_loadcnt 0x0
	v_fmac_f64_e32 v[96:97], v[10:11], v[2:3]
	scratch_load_b128 v[8:11], off, off offset:32 ; 16-byte Folded Reload
	v_fmac_f64_e32 v[40:41], v[56:57], v[2:3]
	v_fmac_f64_e32 v[118:119], v[58:59], v[2:3]
	scratch_load_b128 v[0:3], off, off offset:800 th:TH_LOAD_LU ; 16-byte Folded Reload
	s_wait_loadcnt 0x0
	v_fmac_f64_e32 v[32:33], v[4:5], v[0:1]
	v_fmac_f64_e32 v[54:55], v[6:7], v[0:1]
	v_fmac_f64_e32 v[14:15], v[76:77], v[0:1]
	v_fmac_f64_e32 v[50:51], v[78:79], v[0:1]
	v_fmac_f64_e32 v[30:31], v[98:99], v[0:1]
	v_fmac_f64_e32 v[46:47], v[100:101], v[0:1]
	v_fmac_f64_e32 v[84:85], v[64:65], v[0:1]
	v_fmac_f64_e32 v[22:23], v[66:67], v[0:1]
	s_clause 0x2
	scratch_load_b64 v[64:65], off, off offset:1360
	scratch_load_b64 v[6:7], off, off offset:1312
	;; [unrolled: 1-line block ×3, first 2 shown]
	v_mov_b64_e32 v[4:5], v[82:83]
	scratch_load_b64 v[78:79], off, off offset:1384 ; 8-byte Folded Reload
	v_fmac_f64_e32 v[32:33], v[18:19], v[2:3]
	v_fmac_f64_e32 v[54:55], v[20:21], v[2:3]
	;; [unrolled: 1-line block ×5, first 2 shown]
	s_clause 0x4
	scratch_load_b64 v[76:77], off, off offset:1376
	scratch_load_b64 v[106:107], off, off offset:1368
	;; [unrolled: 1-line block ×5, first 2 shown]
	v_fmac_f64_e32 v[46:47], v[58:59], v[2:3]
	v_fmac_f64_e32 v[84:85], v[8:9], v[2:3]
	;; [unrolled: 1-line block ×3, first 2 shown]
	s_clause 0x1
	scratch_load_b128 v[0:3], off, off offset:464 th:TH_LOAD_LU
	scratch_load_b128 v[8:11], off, off offset:1000
	v_mov_b64_e32 v[104:105], v[12:13]
	v_mov_b64_e32 v[12:13], v[90:91]
	s_wait_loadcnt 0xa
	v_mov_b64_e32 v[20:21], v[64:65]
	s_wait_loadcnt 0x1
	v_fmac_f64_e32 v[36:37], v[42:43], v[0:1]
	v_fmac_f64_e32 v[120:121], v[44:45], v[0:1]
	s_wait_loadcnt 0x0
	v_mov_b64_e32 v[18:19], v[10:11]
	v_mov_b64_e32 v[16:17], v[8:9]
	v_fmac_f64_e32 v[72:73], v[114:115], v[0:1]
	v_fmac_f64_e32 v[38:39], v[116:117], v[0:1]
	v_fmac_f64_e32 v[40:41], v[60:61], v[0:1]
	v_fmac_f64_e32 v[118:119], v[62:63], v[0:1]
	v_fmac_f64_e32 v[126:127], v[108:109], v[0:1]
	v_fmac_f64_e32 v[96:97], v[110:111], v[0:1]
	v_fmac_f64_e32 v[36:37], v[8:9], v[2:3]
	v_fmac_f64_e32 v[120:121], v[10:11], v[2:3]
	scratch_load_b128 v[8:11], off, off offset:384 ; 16-byte Folded Reload
	v_fmac_f64_e32 v[72:73], v[92:93], v[2:3]
	v_fmac_f64_e32 v[38:39], v[94:95], v[2:3]
	;; [unrolled: 1-line block ×4, first 2 shown]
	s_wait_loadcnt 0x0
	v_fmac_f64_e32 v[126:127], v[8:9], v[2:3]
	v_fmac_f64_e32 v[96:97], v[10:11], v[2:3]
	scratch_load_b128 v[0:3], off, off offset:544 th:TH_LOAD_LU ; 16-byte Folded Reload
	s_wait_loadcnt 0x0
	v_fmac_f64_e32 v[32:33], v[42:43], v[0:1]
	v_fmac_f64_e32 v[14:15], v[114:115], v[0:1]
	;; [unrolled: 1-line block ×4, first 2 shown]
	s_clause 0x1
	scratch_load_b64 v[62:63], off, off offset:1256
	scratch_load_b64 v[42:43], off, off offset:1352
	v_fmac_f64_e32 v[84:85], v[108:109], v[0:1]
	scratch_load_b64 v[108:109], off, off offset:1280 ; 8-byte Folded Reload
	v_fmac_f64_e32 v[54:55], v[44:45], v[0:1]
	s_clause 0x1
	scratch_load_b64 v[114:115], off, off offset:1432
	scratch_load_b64 v[116:117], off, off offset:1416
	v_fmac_f64_e32 v[30:31], v[60:61], v[0:1]
	scratch_load_b64 v[60:61], off, off offset:1400 ; 8-byte Folded Reload
	v_fmac_f64_e32 v[22:23], v[110:111], v[0:1]
	s_clause 0x3
	scratch_load_b64 v[110:111], off, off offset:1248
	scratch_load_b64 v[44:45], off, off offset:1272
	;; [unrolled: 1-line block ×4, first 2 shown]
	v_fmac_f64_e32 v[32:33], v[16:17], v[2:3]
	v_fmac_f64_e32 v[14:15], v[92:93], v[2:3]
	;; [unrolled: 1-line block ×3, first 2 shown]
	s_clause 0x3
	scratch_load_b64 v[94:95], off, off offset:1296
	scratch_load_b64 v[16:17], off, off offset:1320
	;; [unrolled: 1-line block ×4, first 2 shown]
	v_fmac_f64_e32 v[46:47], v[124:125], v[2:3]
	v_fmac_f64_e32 v[84:85], v[8:9], v[2:3]
	v_fmac_f64_e32 v[54:55], v[18:19], v[2:3]
	v_mov_b64_e32 v[18:19], v[78:79]
	v_fmac_f64_e32 v[30:31], v[122:123], v[2:3]
	v_mov_b64_e32 v[122:123], v[4:5]
	v_fmac_f64_e32 v[22:23], v[10:11], v[2:3]
	scratch_store_b64 off, v[22:23], off offset:1528 ; 8-byte Folded Spill
	s_wait_loadcnt 0xc
	v_mov_b64_e32 v[2:3], v[42:43]
	s_wait_loadcnt 0x6
	v_mov_b64_e32 v[8:9], v[44:45]
	;; [unrolled: 2-line block ×5, first 2 shown]
	s_cbranch_vccnz .LBB0_30
; %bb.29:                               ;   in Loop: Header=BB0_21 Depth=1
	s_clause 0x3
	scratch_load_b64 v[12:13], off, off offset:1200
	scratch_load_b64 v[8:9], off, off offset:1552
	;; [unrolled: 1-line block ×4, first 2 shown]
	s_wait_loadcnt 0x3
	v_fma_f64 v[18:19], v[78:79], v[12:13], 0
	v_mov_b64_e32 v[78:79], v[6:7]
	scratch_load_b64 v[6:7], off, off offset:1192 ; 8-byte Folded Reload
	v_fma_f64 v[2:3], v[12:13], v[42:43], 0
	v_fma_f64 v[4:5], v[12:13], v[16:17], 0
	;; [unrolled: 1-line block ×4, first 2 shown]
	s_wait_loadcnt 0x0
	s_delay_alu instid0(VALU_DEP_4)
	v_fmac_f64_e32 v[2:3], v[6:7], v[0:1]
	scratch_load_b64 v[0:1], off, off offset:1568 ; 8-byte Folded Reload
	v_fmac_f64_e32 v[10:11], v[6:7], v[8:9]
	v_fma_f64 v[8:9], v[12:13], v[44:45], 0
	v_fmac_f64_e32 v[18:19], v[28:29], v[6:7]
	v_fmac_f64_e32 v[20:21], v[6:7], v[60:61]
	s_delay_alu instid0(VALU_DEP_3) | instskip(SKIP_4) | instid1(VALU_DEP_2)
	v_fmac_f64_e32 v[8:9], v[6:7], v[22:23]
	s_wait_loadcnt 0x0
	v_fmac_f64_e32 v[4:5], v[6:7], v[0:1]
	v_fma_f64 v[0:1], v[12:13], v[94:95], 0
	v_fma_f64 v[12:13], v[12:13], v[90:91], 0
	v_fmac_f64_e32 v[0:1], v[6:7], v[82:83]
	s_delay_alu instid0(VALU_DEP_2)
	v_fmac_f64_e32 v[12:13], v[6:7], v[62:63]
	s_clause 0x2
	scratch_load_b64 v[6:7], off, off offset:1216
	scratch_load_b64 v[22:23], off, off offset:1608
	;; [unrolled: 1-line block ×3, first 2 shown]
	s_wait_loadcnt 0x2
	v_fmac_f64_e32 v[20:21], v[6:7], v[86:87]
	s_wait_loadcnt 0x1
	v_fmac_f64_e32 v[18:19], v[22:23], v[6:7]
	v_fmac_f64_e32 v[2:3], v[6:7], v[92:93]
	;; [unrolled: 1-line block ×7, first 2 shown]
	s_clause 0x1
	scratch_load_b64 v[6:7], off, off offset:1208
	scratch_load_b64 v[22:23], off, off offset:1592
	s_wait_loadcnt 0x1
	v_fmac_f64_e32 v[18:19], v[114:115], v[6:7]
	s_wait_loadcnt 0x0
	v_fmac_f64_e32 v[2:3], v[6:7], v[22:23]
	scratch_load_b64 v[22:23], off, off offset:1544 ; 8-byte Folded Reload
	v_fmac_f64_e32 v[20:21], v[6:7], v[116:117]
	v_fmac_f64_e32 v[4:5], v[6:7], v[76:77]
	;; [unrolled: 1-line block ×4, first 2 shown]
	s_wait_loadcnt 0x0
	v_fmac_f64_e32 v[8:9], v[6:7], v[22:23]
	scratch_load_b64 v[22:23], off, off offset:1520 ; 8-byte Folded Reload
	s_wait_loadcnt 0x0
	v_fmac_f64_e32 v[12:13], v[6:7], v[22:23]
	s_clause 0x1
	scratch_load_b64 v[6:7], off, off offset:1232
	scratch_load_b64 v[22:23], off, off offset:1576
	s_wait_loadcnt 0x1
	v_fmac_f64_e32 v[18:19], v[112:113], v[6:7]
	v_fmac_f64_e32 v[20:21], v[6:7], v[104:105]
	;; [unrolled: 1-line block ×3, first 2 shown]
	s_wait_loadcnt 0x0
	v_fmac_f64_e32 v[4:5], v[6:7], v[22:23]
	v_fmac_f64_e32 v[0:1], v[6:7], v[34:35]
	;; [unrolled: 1-line block ×5, first 2 shown]
	s_clause 0x1
	scratch_load_b64 v[6:7], off, off offset:1224
	scratch_load_b64 v[22:23], off, off offset:1504
	s_wait_loadcnt 0x1
	v_fmac_f64_e32 v[18:19], v[48:49], v[6:7]
	v_fmac_f64_e32 v[20:21], v[6:7], v[52:53]
	;; [unrolled: 1-line block ×8, first 2 shown]
	scratch_load_b64 v[6:7], off, off offset:1240 ; 8-byte Folded Reload
	s_wait_loadcnt 0x0
	v_fmac_f64_e32 v[18:19], v[36:37], v[6:7]
	v_fmac_f64_e32 v[20:21], v[6:7], v[120:121]
	;; [unrolled: 1-line block ×8, first 2 shown]
	scratch_load_b64 v[6:7], off, off offset:1528 ; 8-byte Folded Reload
	v_fmac_f64_e32 v[18:19], v[32:33], v[22:23]
	v_fmac_f64_e32 v[20:21], v[22:23], v[54:55]
	;; [unrolled: 1-line block ×7, first 2 shown]
	s_wait_loadcnt 0x0
	v_fmac_f64_e32 v[12:13], v[22:23], v[6:7]
.LBB0_30:                               ;   in Loop: Header=BB0_21 Depth=1
	s_clause 0x25
	scratch_store_b64 off, v[32:33], off offset:1888
	scratch_store_b64 off, v[36:37], off offset:1880
	;; [unrolled: 1-line block ×29, first 2 shown]
	scratch_load_b64 v[6:7], off, off offset:864 th:TH_LOAD_LU
	scratch_load_b128 v[100:103], off, off offset:984
	scratch_load_b128 v[54:57], off, off offset:320
	;; [unrolled: 1-line block ×8, first 2 shown]
	s_wait_loadcnt 0x9
	s_clause 0x7
	scratch_load_b128 v[92:95], off, off offset:1152
	scratch_load_b128 v[114:117], off, off offset:1120
	;; [unrolled: 1-line block ×8, first 2 shown]
	s_wait_loadcnt 0x10
	v_div_scale_f64 v[14:15], null, v[6:7], v[6:7], 1.0
	s_wait_loadcnt 0xb
	v_mov_b64_e32 v[126:127], v[52:53]
	s_delay_alu instid0(VALU_DEP_2) | instskip(SKIP_1) | instid1(TRANS32_DEP_1)
	v_rcp_f64_e32 v[22:23], v[14:15]
	v_nop
	v_fma_f64 v[24:25], -v[14:15], v[22:23], 1.0
	s_delay_alu instid0(VALU_DEP_1) | instskip(NEXT) | instid1(VALU_DEP_1)
	v_fmac_f64_e32 v[22:23], v[22:23], v[24:25]
	v_fma_f64 v[24:25], -v[14:15], v[22:23], 1.0
	s_delay_alu instid0(VALU_DEP_1) | instskip(SKIP_1) | instid1(VALU_DEP_1)
	v_fmac_f64_e32 v[22:23], v[22:23], v[24:25]
	v_div_scale_f64 v[24:25], vcc_lo, 1.0, v[6:7], 1.0
	v_mul_f64_e32 v[26:27], v[24:25], v[22:23]
	s_delay_alu instid0(VALU_DEP_1) | instskip(NEXT) | instid1(VALU_DEP_1)
	v_fma_f64 v[14:15], -v[14:15], v[26:27], v[24:25]
	v_div_fmas_f64 v[14:15], v[14:15], v[22:23], v[26:27]
	scratch_load_b128 v[22:25], off, off offset:160 ; 16-byte Folded Reload
	s_and_not1_b32 vcc_lo, exec_lo, s10
	v_div_fixup_f64 v[16:17], v[14:15], v[6:7], 1.0
	s_delay_alu instid0(VALU_DEP_1)
	v_mul_f64_e32 v[112:113], v[16:17], v[12:13]
	v_mul_f64_e32 v[12:13], v[16:17], v[10:11]
	;; [unrolled: 1-line block ×3, first 2 shown]
	v_mov_b64_e32 v[2:3], v[54:55]
	v_mul_f64_e32 v[8:9], v[16:17], v[8:9]
	v_mul_f64_e32 v[0:1], v[16:17], v[0:1]
	;; [unrolled: 1-line block ×5, first 2 shown]
	s_clause 0x1
	scratch_load_b128 v[16:19], off, off offset:112
	scratch_store_b64 off, v[2:3], off offset:928
	s_wait_xcnt 0x0
	v_mov_b64_e32 v[2:3], v[56:57]
	s_clause 0x1
	scratch_store_b64 off, v[2:3], off offset:528
	scratch_load_b128 v[2:5], off, off offset:176
	v_mov_b64_e32 v[46:47], v[112:113]
	v_mov_b64_e32 v[82:83], v[72:73]
	v_mov_b64_e32 v[74:75], v[76:77]
	s_wait_loadcnt 0x1
	v_mov_b64_e32 v[86:87], v[16:17]
	v_mov_b64_e32 v[30:31], v[18:19]
	scratch_load_b128 v[16:19], off, off offset:208 ; 16-byte Folded Reload
	s_wait_loadcnt 0x1
	v_mov_b64_e32 v[6:7], v[2:3]
	scratch_store_b64 off, v[6:7], off offset:432 ; 8-byte Folded Spill
	s_wait_xcnt 0x0
	v_mov_b64_e32 v[6:7], v[4:5]
	s_clause 0x1
	scratch_load_b128 v[2:5], off, off offset:80
	scratch_store_b64 off, v[6:7], off offset:1560
	s_wait_xcnt 0x0
	v_mov_b64_e32 v[6:7], v[34:35]
	scratch_store_b64 off, v[6:7], off offset:768 ; 8-byte Folded Spill
	s_wait_xcnt 0x0
	v_mov_b64_e32 v[6:7], v[36:37]
	scratch_store_b64 off, v[6:7], off offset:672 ; 8-byte Folded Spill
	s_wait_loadcnt 0x1
	s_wait_xcnt 0x0
	v_mov_b64_e32 v[6:7], v[16:17]
	scratch_store_b64 off, v[6:7], off offset:936 ; 8-byte Folded Spill
	s_wait_xcnt 0x0
	v_mov_b64_e32 v[6:7], v[18:19]
	scratch_store_b64 off, v[6:7], off offset:896 ; 8-byte Folded Spill
	s_wait_loadcnt 0x0
	v_mov_b64_e32 v[6:7], v[2:3]
	v_mov_b64_e32 v[2:3], v[68:69]
	s_clause 0x1
	scratch_store_b64 off, v[6:7], off offset:464
	scratch_store_b64 off, v[2:3], off offset:576
	s_wait_xcnt 0x1
	v_mov_b64_e32 v[6:7], v[4:5]
	s_wait_xcnt 0x0
	v_mov_b64_e32 v[2:3], v[70:71]
	scratch_store_b64 off, v[6:7], off offset:1088 ; 8-byte Folded Spill
	s_wait_xcnt 0x0
	v_mov_b64_e32 v[6:7], v[60:61]
	s_clause 0x2
	scratch_store_b64 off, v[2:3], off offset:912
	scratch_load_b128 v[2:5], off, off offset:96
	scratch_store_b64 off, v[6:7], off offset:800
	s_wait_xcnt 0x0
	v_mov_b64_e32 v[6:7], v[62:63]
	scratch_store_b64 off, v[6:7], off offset:704 ; 8-byte Folded Spill
	s_wait_xcnt 0x0
	v_mov_b64_e32 v[6:7], v[22:23]
	s_wait_loadcnt 0x0
	scratch_store_b64 off, v[2:3], off offset:496 ; 8-byte Folded Spill
	s_wait_xcnt 0x0
	v_mov_b64_e32 v[2:3], v[4:5]
	s_clause 0x1
	scratch_store_b64 off, v[2:3], off offset:872
	scratch_load_b128 v[2:5], off, off offset:128
	s_wait_loadcnt 0x0
	scratch_store_b64 off, v[2:3], off offset:832 ; 8-byte Folded Spill
	s_wait_xcnt 0x0
	v_mov_b64_e32 v[2:3], v[4:5]
	scratch_store_b64 off, v[2:3], off offset:736 ; 8-byte Folded Spill
	s_wait_xcnt 0x0
	v_mov_b64_e32 v[2:3], v[50:51]
	scratch_store_b64 off, v[2:3], off offset:656 ; 8-byte Folded Spill
	s_wait_xcnt 0x0
	v_mov_b64_e32 v[2:3], v[122:123]
	scratch_store_b64 off, v[2:3], off offset:592 ; 8-byte Folded Spill
	s_wait_xcnt 0x0
	v_mov_b64_e32 v[2:3], v[124:125]
	scratch_store_b64 off, v[2:3], off offset:920 ; 8-byte Folded Spill
	s_wait_xcnt 0x0
	v_mov_b64_e32 v[2:3], v[118:119]
	scratch_store_b64 off, v[6:7], off offset:952 ; 8-byte Folded Spill
	s_wait_xcnt 0x0
	v_mov_b64_e32 v[6:7], v[24:25]
	scratch_store_b64 off, v[2:3], off offset:512 ; 8-byte Folded Spill
	s_wait_xcnt 0x0
	v_mov_b64_e32 v[2:3], v[120:121]
	scratch_store_b64 off, v[2:3], off offset:880 ; 8-byte Folded Spill
	s_wait_xcnt 0x0
	v_mov_b64_e32 v[2:3], v[108:109]
	scratch_store_b64 off, v[2:3], off offset:848 ; 8-byte Folded Spill
	s_wait_xcnt 0x0
	v_mov_b64_e32 v[2:3], v[110:111]
	s_clause 0x2
	scratch_store_b64 off, v[2:3], off offset:752
	scratch_load_b128 v[2:5], off, off offset:32
	scratch_store_b64 off, v[6:7], off offset:544
	s_wait_xcnt 0x0
	v_mov_b64_e32 v[6:7], v[42:43]
	s_wait_loadcnt 0x0
	scratch_store_b64 off, v[2:3], off offset:400 ; 8-byte Folded Spill
	s_wait_xcnt 0x0
	v_mov_b64_e32 v[2:3], v[4:5]
	scratch_store_b64 off, v[2:3], off offset:1112 ; 8-byte Folded Spill
	s_wait_xcnt 0x0
	v_mov_b64_e32 v[2:3], v[64:65]
	;; [unrolled: 3-line block ×4, first 2 shown]
	s_clause 0x1
	scratch_load_b128 v[42:45], off, off offset:48
	scratch_store_b64 off, v[2:3], off offset:560
	s_wait_xcnt 0x0
	v_mov_b64_e32 v[2:3], v[114:115]
	scratch_store_b64 off, v[2:3], off offset:888 ; 8-byte Folded Spill
	s_wait_xcnt 0x0
	v_mov_b64_e32 v[2:3], v[116:117]
	s_clause 0x1
	scratch_store_b64 off, v[6:7], off offset:1096
	scratch_store_b64 off, v[2:3], off offset:448
	s_wait_xcnt 0x0
	v_mov_b64_e32 v[2:3], v[92:93]
	scratch_store_b64 off, v[2:3], off offset:864 ; 8-byte Folded Spill
	s_wait_xcnt 0x0
	v_mov_b64_e32 v[2:3], v[94:95]
	scratch_store_b64 off, v[2:3], off offset:784 ; 8-byte Folded Spill
	s_wait_xcnt 0x0
	v_mov_b64_e32 v[2:3], v[96:97]
	scratch_store_b64 off, v[2:3], off offset:688 ; 8-byte Folded Spill
	s_wait_xcnt 0x0
	v_mov_b64_e32 v[2:3], v[98:99]
	scratch_store_b64 off, v[2:3], off offset:1600 ; 8-byte Folded Spill
	s_wait_xcnt 0x0
	v_mov_b64_e32 v[2:3], v[104:105]
	scratch_store_b64 off, v[2:3], off offset:960 ; 8-byte Folded Spill
	s_wait_xcnt 0x0
	v_mov_b64_e32 v[2:3], v[106:107]
	scratch_store_b64 off, v[2:3], off offset:944 ; 8-byte Folded Spill
	s_wait_xcnt 0x0
	v_mov_b64_e32 v[2:3], v[100:101]
	scratch_store_b64 off, v[2:3], off offset:904 ; 8-byte Folded Spill
	s_wait_xcnt 0x0
	v_mov_b64_e32 v[2:3], v[102:103]
	s_clause 0x1
	scratch_store_b64 off, v[2:3], off offset:480
	scratch_load_b128 v[2:5], off, off
	s_wait_loadcnt 0x1
	v_mov_b64_e32 v[6:7], v[42:43]
	scratch_store_b64 off, v[6:7], off offset:1080 ; 8-byte Folded Spill
	s_wait_xcnt 0x0
	v_mov_b64_e32 v[6:7], v[44:45]
	scratch_load_b128 v[42:45], off, off offset:144 ; 16-byte Folded Reload
	v_mov_b64_e32 v[32:33], v[38:39]
	v_mov_b64_e32 v[26:27], v[40:41]
	scratch_store_b64 off, v[6:7], off offset:720 ; 8-byte Folded Spill
	s_wait_loadcnt 0x1
	s_wait_xcnt 0x0
	v_mov_b64_e32 v[6:7], v[2:3]
	v_mov_b64_e32 v[2:3], v[4:5]
	s_clause 0x2
	scratch_store_b64 off, v[6:7], off offset:1184
	scratch_store_b64 off, v[2:3], off offset:816
	scratch_load_b128 v[2:5], off, off offset:384
	s_wait_loadcnt 0x1
	v_mov_b64_e32 v[84:85], v[42:43]
	v_mov_b64_e32 v[20:21], v[44:45]
	s_wait_loadcnt 0x0
	v_mov_b64_e32 v[6:7], v[2:3]
	v_mov_b64_e32 v[28:29], v[4:5]
	scratch_store_b64 off, v[6:7], off offset:416 ; 8-byte Folded Spill
	s_wait_xcnt 0x0
	v_mov_b64_e32 v[6:7], v[12:13]
	s_clause 0x4
	scratch_store_b64 off, v[10:11], off offset:1176
	scratch_store_b64 off, v[14:15], off offset:1480
	;; [unrolled: 1-line block ×5, first 2 shown]
	s_cbranch_vccnz .LBB0_32
; %bb.31:                               ;   in Loop: Header=BB0_21 Depth=1
	s_clause 0xa
	scratch_load_b64 v[26:27], off, off offset:1200
	scratch_load_b64 v[126:127], off, off offset:1216
	;; [unrolled: 1-line block ×8, first 2 shown]
	scratch_load_b128 v[78:81], off, off offset:176
	scratch_load_b128 v[84:87], off, off offset:80
	;; [unrolled: 1-line block ×3, first 2 shown]
	v_mov_b64_e32 v[30:31], v[34:35]
	v_mov_b64_e32 v[32:33], v[36:37]
	;; [unrolled: 1-line block ×6, first 2 shown]
	s_wait_loadcnt 0xa
	v_mul_f64_e32 v[6:7], v[76:77], v[26:27]
	v_mul_f64_e32 v[82:83], v[72:73], v[26:27]
	scratch_store_b64 off, v[6:7], off offset:1168 ; 8-byte Folded Spill
	s_wait_loadcnt 0x7
	s_wait_xcnt 0x0
	v_fma_f64 v[6:7], -v[76:77], v[20:21], v[54:55]
	scratch_store_b64 off, v[6:7], off offset:928 ; 8-byte Folded Spill
	s_wait_xcnt 0x0
	v_fma_f64 v[6:7], -v[76:77], v[126:127], v[16:17]
	scratch_store_b64 off, v[6:7], off offset:936 ; 8-byte Folded Spill
	;; [unrolled: 3-line block ×3, first 2 shown]
	s_wait_loadcnt 0x6
	s_wait_xcnt 0x0
	v_fma_f64 v[6:7], -v[76:77], v[90:91], v[68:69]
	scratch_store_b64 off, v[6:7], off offset:576 ; 8-byte Folded Spill
	s_wait_loadcnt 0x3
	s_wait_xcnt 0x0
	v_fma_f64 v[6:7], -v[76:77], v[74:75], v[122:123]
	scratch_store_b64 off, v[6:7], off offset:592 ; 8-byte Folded Spill
	s_wait_xcnt 0x0
	v_fma_f64 v[6:7], -v[76:77], v[88:89], v[64:65]
	scratch_store_b64 off, v[6:7], off offset:608 ; 8-byte Folded Spill
	;; [unrolled: 3-line block ×4, first 2 shown]
	s_wait_xcnt 0x0
	v_fma_f64 v[6:7], -v[72:73], v[126:127], v[18:19]
	v_mov_b64_e32 v[16:17], v[42:43]
	v_mov_b64_e32 v[18:19], v[44:45]
	;; [unrolled: 1-line block ×8, first 2 shown]
	scratch_store_b64 off, v[6:7], off offset:896 ; 8-byte Folded Spill
	s_wait_xcnt 0x0
	v_fma_f64 v[6:7], -v[72:73], v[58:59], v[24:25]
	scratch_store_b64 off, v[6:7], off offset:544 ; 8-byte Folded Spill
	s_wait_xcnt 0x0
	v_fma_f64 v[6:7], -v[72:73], v[90:91], v[70:71]
	v_mov_b64_e32 v[70:71], v[24:25]
	v_mov_b64_e32 v[68:69], v[22:23]
	s_clause 0x1
	scratch_load_b128 v[22:25], off, off offset:96
	scratch_store_b64 off, v[6:7], off offset:912
	s_wait_xcnt 0x0
	v_fma_f64 v[6:7], -v[72:73], v[74:75], v[124:125]
	scratch_store_b64 off, v[6:7], off offset:920 ; 8-byte Folded Spill
	s_wait_xcnt 0x0
	v_fma_f64 v[6:7], -v[72:73], v[88:89], v[66:67]
	scratch_store_b64 off, v[6:7], off offset:560 ; 8-byte Folded Spill
	;; [unrolled: 3-line block ×3, first 2 shown]
	s_wait_xcnt 0x0
	v_mul_f64_e32 v[6:7], v[10:11], v[26:27]
	scratch_store_b64 off, v[6:7], off offset:1176 ; 8-byte Folded Spill
	s_wait_loadcnt 0x3
	s_wait_xcnt 0x0
	v_fma_f64 v[6:7], -v[10:11], v[20:21], v[78:79]
	scratch_store_b64 off, v[6:7], off offset:432 ; 8-byte Folded Spill
	s_wait_loadcnt 0x2
	s_wait_xcnt 0x0
	v_fma_f64 v[6:7], -v[10:11], v[126:127], v[84:85]
	scratch_store_b64 off, v[6:7], off offset:464 ; 8-byte Folded Spill
	s_wait_loadcnt 0x1
	s_wait_xcnt 0x0
	v_fma_f64 v[6:7], -v[10:11], v[58:59], v[46:47]
	scratch_store_b64 off, v[6:7], off offset:1104 ; 8-byte Folded Spill
	s_wait_loadcnt 0x0
	v_fma_f64 v[6:7], -v[10:11], v[90:91], v[22:23]
	scratch_store_b64 off, v[6:7], off offset:496 ; 8-byte Folded Spill
	s_wait_xcnt 0x0
	v_fma_f64 v[6:7], -v[10:11], v[74:75], v[118:119]
	scratch_store_b64 off, v[6:7], off offset:512 ; 8-byte Folded Spill
	s_wait_xcnt 0x0
	;; [unrolled: 3-line block ×4, first 2 shown]
	v_mul_f64_e32 v[6:7], v[14:15], v[26:27]
	scratch_store_b64 off, v[6:7], off offset:1480 ; 8-byte Folded Spill
	s_wait_xcnt 0x0
	v_fma_f64 v[6:7], -v[14:15], v[20:21], v[80:81]
	s_clause 0x1
	scratch_load_b128 v[78:81], off, off offset:128
	scratch_store_b64 off, v[6:7], off offset:1560
	s_wait_xcnt 0x0
	v_fma_f64 v[6:7], -v[14:15], v[126:127], v[86:87]
	s_clause 0x1
	scratch_load_b128 v[84:87], off, off
	scratch_store_b64 off, v[6:7], off offset:1088
	s_wait_xcnt 0x0
	v_fma_f64 v[6:7], -v[14:15], v[58:59], v[48:49]
	s_clause 0x1
	scratch_load_b128 v[46:49], off, off offset:48
	scratch_store_b64 off, v[6:7], off offset:1096
	s_wait_xcnt 0x0
	v_fma_f64 v[6:7], -v[14:15], v[90:91], v[24:25]
	v_mov_b64_e32 v[22:23], v[68:69]
	v_mov_b64_e32 v[24:25], v[70:71]
	;; [unrolled: 1-line block ×16, first 2 shown]
	v_fma_f64 v[32:33], -v[8:9], v[126:127], v[38:39]
	s_delay_alu instid0(VALU_DEP_3)
	v_fma_f64 v[30:31], -v[12:13], v[20:21], v[36:37]
	scratch_store_b64 off, v[6:7], off offset:872 ; 8-byte Folded Spill
	s_wait_xcnt 0x0
	v_fma_f64 v[6:7], -v[14:15], v[74:75], v[120:121]
	scratch_store_b64 off, v[30:31], off offset:672 ; 8-byte Folded Spill
	s_wait_xcnt 0x0
	;; [unrolled: 3-line block ×3, first 2 shown]
	v_fma_f64 v[6:7], -v[14:15], v[88:89], v[116:117]
	s_clause 0x1
	scratch_store_b64 off, v[30:31], off offset:704
	scratch_store_b64 off, v[6:7], off offset:448
	s_wait_xcnt 0x0
	v_fma_f64 v[6:7], -v[14:15], v[28:29], v[102:103]
	scratch_store_b64 off, v[6:7], off offset:480 ; 8-byte Folded Spill
	s_wait_xcnt 0x0
	v_mul_f64_e32 v[6:7], v[0:1], v[26:27]
	scratch_store_b64 off, v[6:7], off offset:1472 ; 8-byte Folded Spill
	s_wait_xcnt 0x0
	v_fma_f64 v[6:7], -v[0:1], v[20:21], v[34:35]
	scratch_store_b64 off, v[6:7], off offset:768 ; 8-byte Folded Spill
	s_wait_xcnt 0x0
	v_fma_f64 v[6:7], -v[0:1], v[126:127], v[60:61]
	s_wait_loadcnt 0x0
	v_fma_f64 v[30:31], -v[12:13], v[58:59], v[48:49]
	scratch_store_b64 off, v[6:7], off offset:800 ; 8-byte Folded Spill
	s_wait_xcnt 0x0
	v_fma_f64 v[6:7], -v[0:1], v[58:59], v[46:47]
	s_clause 0x1
	scratch_load_b128 v[46:49], off, off offset:32
	scratch_store_b64 off, v[30:31], off offset:720
	s_wait_xcnt 0x0
	v_fma_f64 v[30:31], -v[12:13], v[90:91], v[80:81]
	scratch_store_b64 off, v[30:31], off offset:736 ; 8-byte Folded Spill
	s_wait_xcnt 0x0
	v_fma_f64 v[30:31], -v[12:13], v[74:75], v[110:111]
	scratch_store_b64 off, v[30:31], off offset:752 ; 8-byte Folded Spill
	;; [unrolled: 3-line block ×4, first 2 shown]
	s_wait_xcnt 0x0
	v_mul_f64_e32 v[30:31], v[8:9], v[26:27]
	scratch_store_b64 off, v[30:31], off offset:1488 ; 8-byte Folded Spill
	s_wait_xcnt 0x0
	v_fma_f64 v[30:31], -v[8:9], v[90:91], v[50:51]
	scratch_store_b64 off, v[6:7], off offset:1080 ; 8-byte Folded Spill
	s_wait_xcnt 0x0
	v_fma_f64 v[6:7], -v[0:1], v[90:91], v[78:79]
	s_clause 0x1
	scratch_load_b128 v[78:81], off, off offset:112
	scratch_store_b64 off, v[30:31], off offset:656
	s_wait_loadcnt 0x1
	s_wait_xcnt 0x0
	v_fma_f64 v[30:31], -v[8:9], v[74:75], v[46:47]
	scratch_store_b64 off, v[6:7], off offset:832 ; 8-byte Folded Spill
	s_wait_xcnt 0x0
	v_fma_f64 v[6:7], -v[0:1], v[74:75], v[108:109]
	v_mul_f64_e32 v[46:47], v[112:113], v[26:27]
	scratch_store_b64 off, v[30:31], off offset:400 ; 8-byte Folded Spill
	s_wait_xcnt 0x0
	v_fma_f64 v[30:31], -v[8:9], v[88:89], v[96:97]
	scratch_store_b64 off, v[6:7], off offset:848 ; 8-byte Folded Spill
	s_wait_xcnt 0x0
	v_fma_f64 v[6:7], -v[0:1], v[88:89], v[92:93]
	;; [unrolled: 3-line block ×4, first 2 shown]
	v_fma_f64 v[84:85], -v[8:9], v[58:59], v[42:43]
	v_fma_f64 v[28:29], -v[112:113], v[28:29], v[4:5]
	s_clause 0x1
	scratch_store_b64 off, v[30:31], off offset:416
	scratch_store_b64 off, v[28:29], off offset:624
	s_wait_loadcnt 0x0
	v_fma_f64 v[86:87], -v[8:9], v[20:21], v[78:79]
	s_wait_xcnt 0x1
	v_fma_f64 v[30:31], -v[112:113], v[20:21], v[80:81]
	v_fma_f64 v[20:21], -v[112:113], v[58:59], v[44:45]
	;; [unrolled: 1-line block ×3, first 2 shown]
	s_clause 0x1
	scratch_load_b64 v[74:75], off, off offset:1168
	scratch_store_b64 off, v[6:7], off offset:1184
	s_wait_xcnt 0x0
	v_mul_f64_e32 v[6:7], v[12:13], v[26:27]
	v_fma_f64 v[26:27], -v[112:113], v[126:127], v[40:41]
	v_fma_f64 v[126:127], -v[112:113], v[90:91], v[52:53]
	scratch_store_b64 off, v[58:59], off offset:1112 ; 8-byte Folded Spill
	s_wait_xcnt 0x0
	v_fma_f64 v[58:59], -v[112:113], v[88:89], v[98:99]
	scratch_store_b64 off, v[58:59], off offset:1600 ; 8-byte Folded Spill
.LBB0_32:                               ;   in Loop: Header=BB0_21 Depth=1
	s_clause 0x4
	scratch_store_b64 off, v[86:87], off offset:1168
	scratch_store_b64 off, v[32:33], off offset:1464
	;; [unrolled: 1-line block ×5, first 2 shown]
	v_mov_b64_e32 v[80:81], v[62:63]
	v_mov_b64_e32 v[78:79], v[60:61]
	scratch_load_b128 v[58:61], off, off offset:288 ; 16-byte Folded Reload
	s_wait_xcnt 0x2
	v_mov_b64_e32 v[26:27], v[92:93]
	v_mov_b64_e32 v[32:33], v[46:47]
	;; [unrolled: 1-line block ×7, first 2 shown]
	s_clause 0x3
	scratch_load_b128 v[88:91], off, off offset:1016 th:TH_LOAD_LU
	scratch_load_b128 v[92:95], off, off offset:1032 th:TH_LOAD_LU
	;; [unrolled: 1-line block ×4, first 2 shown]
	s_wait_xcnt 0x5
	v_mov_b64_e32 v[20:21], v[18:19]
	v_mov_b64_e32 v[18:19], v[16:17]
	s_mov_b32 m0, s11
	s_add_co_i32 s9, s9, 1
	s_delay_alu instid0(SALU_CYCLE_1) | instskip(SKIP_2) | instid1(VALU_DEP_1)
	s_cmp_eq_u32 s8, s9
	s_wait_loadcnt 0x3
	v_fma_f64 v[16:17], v[58:59], v[88:89], 0
	v_fmac_f64_e32 v[16:17], v[54:55], v[90:91]
	s_wait_loadcnt 0x2
	s_delay_alu instid0(VALU_DEP_1) | instskip(SKIP_1) | instid1(VALU_DEP_2)
	v_fmac_f64_e32 v[16:17], v[18:19], v[92:93]
	v_fma_f64 v[18:19], v[88:89], v[60:61], 0
	v_fmac_f64_e32 v[16:17], v[22:23], v[94:95]
	s_delay_alu instid0(VALU_DEP_2) | instskip(SKIP_4) | instid1(VALU_DEP_2)
	v_fmac_f64_e32 v[18:19], v[90:91], v[56:57]
	scratch_load_b128 v[54:57], off, off offset:176 ; 16-byte Folded Reload
	s_wait_loadcnt 0x2
	v_fmac_f64_e32 v[16:17], v[68:69], v[96:97]
	v_fmac_f64_e32 v[18:19], v[92:93], v[20:21]
	v_fmac_f64_e32 v[16:17], v[122:123], v[98:99]
	s_delay_alu instid0(VALU_DEP_2)
	v_fmac_f64_e32 v[18:19], v[94:95], v[24:25]
	scratch_load_b128 v[22:25], off, off offset:64 ; 16-byte Folded Reload
	s_wait_loadcnt 0x2
	v_fmac_f64_e32 v[16:17], v[64:65], v[100:101]
	v_fmac_f64_e32 v[18:19], v[96:97], v[70:71]
	scratch_load_b128 v[68:71], off, off offset:80 ; 16-byte Folded Reload
	v_fmac_f64_e32 v[16:17], v[104:105], v[102:103]
	v_fmac_f64_e32 v[18:19], v[98:99], v[124:125]
	s_delay_alu instid0(VALU_DEP_1)
	v_fmac_f64_e32 v[18:19], v[100:101], v[66:67]
	scratch_load_b128 v[64:67], off, off offset:968 ; 16-byte Folded Reload
	v_fmac_f64_e32 v[18:19], v[102:103], v[106:107]
	scratch_load_b128 v[104:107], off, off offset:96 ; 16-byte Folded Reload
	s_wait_loadcnt 0x1
	v_fma_f64 v[20:21], v[88:89], v[64:65], 0
	s_delay_alu instid0(VALU_DEP_1) | instskip(NEXT) | instid1(VALU_DEP_1)
	v_fmac_f64_e32 v[20:21], v[90:91], v[54:55]
	v_fmac_f64_e32 v[20:21], v[92:93], v[68:69]
	s_delay_alu instid0(VALU_DEP_1) | instskip(SKIP_2) | instid1(VALU_DEP_2)
	v_fmac_f64_e32 v[20:21], v[94:95], v[22:23]
	v_fma_f64 v[22:23], v[88:89], v[66:67], 0
	s_wait_loadcnt 0x0
	v_fmac_f64_e32 v[20:21], v[96:97], v[104:105]
	s_delay_alu instid0(VALU_DEP_2)
	v_fmac_f64_e32 v[22:23], v[90:91], v[56:57]
	scratch_load_b128 v[54:57], off, off    ; 16-byte Folded Reload
	v_fmac_f64_e32 v[20:21], v[98:99], v[118:119]
	v_fmac_f64_e32 v[22:23], v[92:93], v[70:71]
	scratch_load_b128 v[68:71], off, off offset:48 ; 16-byte Folded Reload
	v_fmac_f64_e32 v[20:21], v[100:101], v[114:115]
	v_fmac_f64_e32 v[22:23], v[94:95], v[24:25]
	s_delay_alu instid0(VALU_DEP_2) | instskip(NEXT) | instid1(VALU_DEP_2)
	v_fmac_f64_e32 v[20:21], v[102:103], v[84:85]
	v_fmac_f64_e32 v[22:23], v[96:97], v[106:107]
	scratch_load_b128 v[104:107], off, off offset:192 ; 16-byte Folded Reload
	v_fmac_f64_e32 v[22:23], v[98:99], v[120:121]
	s_delay_alu instid0(VALU_DEP_1) | instskip(NEXT) | instid1(VALU_DEP_1)
	v_fmac_f64_e32 v[22:23], v[100:101], v[116:117]
	v_fmac_f64_e32 v[22:23], v[102:103], v[86:87]
	scratch_load_b128 v[84:87], off, off offset:128 ; 16-byte Folded Reload
	s_wait_loadcnt 0x1
	v_fma_f64 v[24:25], v[88:89], v[104:105], 0
	s_delay_alu instid0(VALU_DEP_1) | instskip(NEXT) | instid1(VALU_DEP_1)
	v_fmac_f64_e32 v[24:25], v[90:91], v[34:35]
	v_fmac_f64_e32 v[24:25], v[92:93], v[78:79]
	s_delay_alu instid0(VALU_DEP_1) | instskip(SKIP_1) | instid1(VALU_DEP_1)
	v_fmac_f64_e32 v[24:25], v[94:95], v[68:69]
	s_wait_loadcnt 0x0
	v_fmac_f64_e32 v[24:25], v[96:97], v[84:85]
	s_delay_alu instid0(VALU_DEP_1) | instskip(NEXT) | instid1(VALU_DEP_1)
	v_fmac_f64_e32 v[24:25], v[98:99], v[108:109]
	v_fmac_f64_e32 v[24:25], v[100:101], v[26:27]
	v_fma_f64 v[26:27], v[88:89], v[106:107], 0
	s_delay_alu instid0(VALU_DEP_2) | instskip(NEXT) | instid1(VALU_DEP_2)
	v_fmac_f64_e32 v[24:25], v[102:103], v[54:55]
	v_fmac_f64_e32 v[26:27], v[90:91], v[36:37]
	s_delay_alu instid0(VALU_DEP_1) | instskip(NEXT) | instid1(VALU_DEP_1)
	v_fmac_f64_e32 v[26:27], v[92:93], v[80:81]
	v_fmac_f64_e32 v[26:27], v[94:95], v[70:71]
	s_delay_alu instid0(VALU_DEP_1) | instskip(SKIP_4) | instid1(VALU_DEP_1)
	v_fmac_f64_e32 v[26:27], v[96:97], v[86:87]
	s_clause 0x1
	scratch_load_b128 v[84:87], off, off offset:112
	scratch_load_b128 v[34:37], off, off offset:272
	v_fmac_f64_e32 v[26:27], v[98:99], v[110:111]
	v_fmac_f64_e32 v[26:27], v[100:101], v[28:29]
	s_delay_alu instid0(VALU_DEP_1) | instskip(SKIP_3) | instid1(VALU_DEP_1)
	v_fmac_f64_e32 v[26:27], v[102:103], v[56:57]
	scratch_load_b128 v[54:57], off, off offset:32 ; 16-byte Folded Reload
	s_wait_loadcnt 0x1
	v_fma_f64 v[28:29], v[88:89], v[34:35], 0
	v_fmac_f64_e32 v[28:29], v[90:91], v[84:85]
	s_delay_alu instid0(VALU_DEP_1) | instskip(SKIP_2) | instid1(VALU_DEP_3)
	v_fmac_f64_e32 v[28:29], v[92:93], v[38:39]
	v_mov_b64_e32 v[38:39], v[30:31]
	v_fma_f64 v[30:31], v[88:89], v[36:37], 0
	v_fmac_f64_e32 v[28:29], v[94:95], v[42:43]
	s_delay_alu instid0(VALU_DEP_2) | instskip(NEXT) | instid1(VALU_DEP_2)
	v_fmac_f64_e32 v[30:31], v[90:91], v[86:87]
	v_fmac_f64_e32 v[28:29], v[96:97], v[50:51]
	s_delay_alu instid0(VALU_DEP_2) | instskip(SKIP_1) | instid1(VALU_DEP_2)
	v_fmac_f64_e32 v[30:31], v[92:93], v[40:41]
	s_wait_loadcnt 0x0
	v_fmac_f64_e32 v[28:29], v[98:99], v[54:55]
	s_delay_alu instid0(VALU_DEP_2) | instskip(NEXT) | instid1(VALU_DEP_2)
	v_fmac_f64_e32 v[30:31], v[94:95], v[44:45]
	v_fmac_f64_e32 v[28:29], v[100:101], v[46:47]
	s_delay_alu instid0(VALU_DEP_2) | instskip(NEXT) | instid1(VALU_DEP_2)
	v_fmac_f64_e32 v[30:31], v[96:97], v[52:53]
	v_fmac_f64_e32 v[28:29], v[102:103], v[2:3]
	scratch_load_b64 v[2:3], off, off offset:1496 th:TH_LOAD_LU ; 8-byte Folded Reload
	v_fmac_f64_e32 v[30:31], v[98:99], v[56:57]
	s_delay_alu instid0(VALU_DEP_1) | instskip(NEXT) | instid1(VALU_DEP_1)
	v_fmac_f64_e32 v[30:31], v[100:101], v[48:49]
	v_fmac_f64_e32 v[30:31], v[102:103], v[4:5]
	v_add_f64_e64 v[4:5], v[106:107], -v[6:7]
	s_wait_loadcnt 0x0
	v_fmac_f64_e32 v[16:17], v[2:3], v[76:77]
	v_fmac_f64_e32 v[18:19], v[2:3], v[72:73]
	;; [unrolled: 1-line block ×8, first 2 shown]
	scratch_load_b64 v[2:3], off, off offset:1616 ; 8-byte Folded Reload
	v_add_f64_e64 v[10:11], v[58:59], -v[74:75]
	v_add_f64_e64 v[8:9], v[36:37], -v[32:33]
	v_mov_b64_e32 v[12:13], v[4:5]
	v_movrels_b32_e32 v1, v17
	v_movrels_b32_e32 v0, v16
	v_mov_b64_e32 v[36:37], v[10:11]
	s_wait_loadcnt 0x0
	s_delay_alu instid0(VALU_DEP_2) | instskip(NEXT) | instid1(VALU_DEP_1)
	v_add_f64_e32 v[0:1], v[2:3], v[0:1]
	v_movreld_b32_e32 v16, v0
	s_delay_alu instid0(VALU_DEP_2)
	v_movreld_b32_e32 v17, v1
	s_clause 0x4
	scratch_store_b128 off, v[16:19], off offset:1016
	scratch_store_b128 off, v[20:23], off offset:1032
	;; [unrolled: 1-line block ×4, first 2 shown]
	scratch_load_b64 v[0:1], off, off offset:1488 th:TH_LOAD_LU
	s_wait_xcnt 0x1
	v_add_f64_e64 v[24:25], v[60:61], -v[82:83]
	scratch_load_b64 v[14:15], off, off offset:1384 th:TH_LOAD_LU ; 8-byte Folded Reload
	s_wait_loadcnt 0x1
	v_add_f64_e64 v[2:3], v[34:35], -v[0:1]
	scratch_load_b64 v[0:1], off, off offset:1472 th:TH_LOAD_LU ; 8-byte Folded Reload
	s_wait_loadcnt 0x0
	v_add_f64_e64 v[6:7], v[104:105], -v[0:1]
	scratch_load_b64 v[0:1], off, off offset:1480 th:TH_LOAD_LU ; 8-byte Folded Reload
	v_mov_b64_e32 v[16:17], v[6:7]
	s_wait_loadcnt 0x0
	v_add_f64_e64 v[100:101], v[66:67], -v[0:1]
	s_clause 0x1
	scratch_load_b64 v[0:1], off, off offset:1176 th:TH_LOAD_LU
	scratch_store_b64 off, v[36:37], off offset:1176
	s_wait_loadcnt 0x0
	v_add_f64_e64 v[20:21], v[64:65], -v[0:1]
	v_fma_f64 v[0:1], v[14:15], v[10:11], 0
	s_clause 0x1
	scratch_load_b64 v[10:11], off, off offset:928
	scratch_load_b64 v[26:27], off, off offset:1424 th:TH_LOAD_LU
	s_wait_loadcnt 0x1
	v_mov_b64_e32 v[56:57], v[10:11]
	s_wait_loadcnt 0x0
	v_fmac_f64_e32 v[0:1], v[26:27], v[10:11]
	s_clause 0x1
	scratch_load_b64 v[10:11], off, off offset:936
	scratch_load_b64 v[28:29], off, off offset:1608 th:TH_LOAD_LU
	s_wait_loadcnt 0x1
	v_mov_b64_e32 v[40:41], v[10:11]
	s_wait_loadcnt 0x0
	v_fmac_f64_e32 v[0:1], v[28:29], v[10:11]
	s_clause 0x2
	scratch_store_b64 off, v[40:41], off offset:936
	scratch_load_b64 v[10:11], off, off offset:952
	scratch_load_b64 v[30:31], off, off offset:1432 th:TH_LOAD_LU
	s_wait_loadcnt 0x1
	v_mov_b64_e32 v[58:59], v[10:11]
	s_wait_loadcnt 0x0
	v_fmac_f64_e32 v[0:1], v[30:31], v[10:11]
	s_clause 0x2
	scratch_store_b64 off, v[58:59], off offset:952
	scratch_load_b64 v[10:11], off, off offset:576
	scratch_load_b64 v[18:19], off, off offset:1672 th:TH_LOAD_LU
	s_wait_loadcnt 0x1
	v_mov_b64_e32 v[70:71], v[10:11]
	s_wait_loadcnt 0x0
	v_fmac_f64_e32 v[0:1], v[18:19], v[10:11]
	s_clause 0x6
	scratch_store_b64 off, v[70:71], off offset:576
	scratch_load_b64 v[78:79], off, off offset:592
	scratch_load_b64 v[34:35], off, off offset:1776 th:TH_LOAD_LU
	scratch_load_b64 v[10:11], off, off offset:608
	scratch_load_b64 v[52:53], off, off offset:1880 th:TH_LOAD_LU
	;; [unrolled: 2-line block ×3, first 2 shown]
	s_wait_loadcnt 0x3
	v_mov_b64_e32 v[80:81], v[10:11]
	v_fmac_f64_e32 v[0:1], v[34:35], v[78:79]
	s_wait_loadcnt 0x2
	s_delay_alu instid0(VALU_DEP_1) | instskip(SKIP_1) | instid1(VALU_DEP_1)
	v_fmac_f64_e32 v[0:1], v[52:53], v[10:11]
	s_wait_loadcnt 0x0
	v_fmac_f64_e32 v[0:1], v[60:61], v[42:43]
	s_clause 0x5
	scratch_store_b64 off, v[42:43], off offset:960
	scratch_store_b64 off, v[0:1], off offset:1720
	scratch_load_b64 v[10:11], off, off offset:528
	scratch_load_b64 v[94:95], off, off offset:544
	;; [unrolled: 1-line block ×4, first 2 shown]
	s_wait_xcnt 0x4
	v_fma_f64 v[0:1], v[14:15], v[24:25], 0
	s_clause 0x2
	scratch_load_b64 v[66:67], off, off offset:920
	scratch_load_b64 v[74:75], off, off offset:464
	;; [unrolled: 1-line block ×3, first 2 shown]
	s_wait_loadcnt 0x6
	v_fmac_f64_e32 v[0:1], v[26:27], v[10:11]
	v_mov_b64_e32 v[116:117], v[10:11]
	scratch_load_b64 v[10:11], off, off offset:896 ; 8-byte Folded Reload
	s_wait_loadcnt 0x0
	v_fmac_f64_e32 v[0:1], v[28:29], v[10:11]
	v_mov_b64_e32 v[44:45], v[10:11]
	scratch_load_b64 v[10:11], off, off offset:944 ; 8-byte Folded Reload
	v_fmac_f64_e32 v[0:1], v[30:31], v[94:95]
	s_delay_alu instid0(VALU_DEP_1) | instskip(NEXT) | instid1(VALU_DEP_1)
	v_fmac_f64_e32 v[0:1], v[18:19], v[64:65]
	v_fmac_f64_e32 v[0:1], v[34:35], v[66:67]
	s_delay_alu instid0(VALU_DEP_1) | instskip(SKIP_1) | instid1(VALU_DEP_1)
	v_fmac_f64_e32 v[0:1], v[52:53], v[68:69]
	s_wait_loadcnt 0x0
	v_fmac_f64_e32 v[0:1], v[60:61], v[10:11]
	v_mov_b64_e32 v[122:123], v[10:11]
	s_clause 0x1
	scratch_load_b64 v[10:11], off, off offset:432
	scratch_store_b64 off, v[0:1], off offset:1728
	s_wait_xcnt 0x0
	v_fma_f64 v[0:1], v[14:15], v[20:21], 0
	s_wait_loadcnt 0x0
	s_delay_alu instid0(VALU_DEP_1) | instskip(SKIP_2) | instid1(VALU_DEP_1)
	v_fmac_f64_e32 v[0:1], v[26:27], v[10:11]
	scratch_load_b64 v[10:11], off, off offset:496 ; 8-byte Folded Reload
	v_fmac_f64_e32 v[0:1], v[28:29], v[74:75]
	v_fmac_f64_e32 v[0:1], v[30:31], v[102:103]
	s_wait_loadcnt 0x0
	s_delay_alu instid0(VALU_DEP_1)
	v_fmac_f64_e32 v[0:1], v[18:19], v[10:11]
	v_mov_b64_e32 v[96:97], v[10:11]
	s_clause 0x2
	scratch_load_b64 v[10:11], off, off offset:512
	scratch_store_b64 off, v[74:75], off offset:464
	scratch_store_b64 off, v[96:97], off offset:496
	s_wait_loadcnt 0x0
	v_fmac_f64_e32 v[0:1], v[34:35], v[10:11]
	scratch_load_b64 v[10:11], off, off offset:888 ; 8-byte Folded Reload
	s_wait_loadcnt 0x0
	v_fmac_f64_e32 v[0:1], v[52:53], v[10:11]
	scratch_load_b64 v[10:11], off, off offset:904 ; 8-byte Folded Reload
	s_wait_loadcnt 0x0
	v_fmac_f64_e32 v[0:1], v[60:61], v[10:11]
	v_mov_b64_e32 v[90:91], v[10:11]
	s_clause 0x13
	scratch_store_b64 off, v[90:91], off offset:904
	scratch_store_b64 off, v[0:1], off offset:1736
	scratch_load_b64 v[104:105], off, off offset:1560 th:TH_LOAD_LU
	scratch_load_b64 v[50:51], off, off offset:1088
	scratch_load_b64 v[108:109], off, off offset:880
	;; [unrolled: 1-line block ×3, first 2 shown]
	scratch_load_b64 v[82:83], off, off offset:1928 th:TH_LOAD_LU
	scratch_load_b64 v[92:93], off, off offset:1080
	scratch_load_b64 v[62:63], off, off offset:872
	;; [unrolled: 1-line block ×13, first 2 shown]
	s_wait_xcnt 0x12
	v_fma_f64 v[0:1], v[14:15], v[100:101], 0
	s_clause 0x4
	scratch_load_b64 v[124:125], off, off offset:1600 th:TH_LOAD_LU
	scratch_load_b64 v[98:99], off, off offset:1904 th:TH_LOAD_LU
	scratch_load_b64 v[110:111], off, off offset:1440
	scratch_load_b64 v[120:121], off, off offset:1112
	scratch_store_b64 off, v[38:39], off offset:1944
	s_wait_loadcnt 0x15
	v_fmac_f64_e32 v[0:1], v[26:27], v[104:105]
	s_wait_loadcnt 0xe
	v_mov_b64_e32 v[48:49], v[6:7]
	s_wait_loadcnt 0xc
	scratch_store_b64 off, v[112:113], off offset:848 ; 8-byte Folded Spill
	s_wait_loadcnt 0x6
	v_mov_b64_e32 v[46:47], v[4:5]
	s_wait_loadcnt 0x5
	s_clause 0x1
	scratch_store_b64 off, v[84:85], off offset:704
	scratch_store_b64 off, v[86:87], off offset:832
	s_wait_loadcnt 0x4
	scratch_store_b64 off, v[32:33], off offset:720 ; 8-byte Folded Spill
	v_fmac_f64_e32 v[0:1], v[28:29], v[50:51]
	s_delay_alu instid0(VALU_DEP_1) | instskip(NEXT) | instid1(VALU_DEP_1)
	v_fmac_f64_e32 v[0:1], v[30:31], v[54:55]
	v_fmac_f64_e32 v[0:1], v[18:19], v[62:63]
	s_delay_alu instid0(VALU_DEP_1) | instskip(NEXT) | instid1(VALU_DEP_1)
	v_fmac_f64_e32 v[0:1], v[34:35], v[108:109]
	v_fmac_f64_e32 v[0:1], v[52:53], v[106:107]
	s_delay_alu instid0(VALU_DEP_1)
	v_fmac_f64_e32 v[0:1], v[60:61], v[10:11]
	v_mov_b64_e32 v[10:11], v[2:3]
	s_clause 0x1
	scratch_load_b64 v[2:3], off, off offset:1456
	scratch_store_b64 off, v[0:1], off offset:1744
	s_wait_xcnt 0x0
	v_fma_f64 v[0:1], v[14:15], v[16:17], 0
	s_delay_alu instid0(VALU_DEP_1) | instskip(NEXT) | instid1(VALU_DEP_1)
	v_fmac_f64_e32 v[0:1], v[26:27], v[118:119]
	v_fmac_f64_e32 v[0:1], v[28:29], v[6:7]
	scratch_load_b64 v[6:7], off, off offset:864 ; 8-byte Folded Reload
	v_fmac_f64_e32 v[0:1], v[30:31], v[92:93]
	s_delay_alu instid0(VALU_DEP_1) | instskip(NEXT) | instid1(VALU_DEP_1)
	v_fmac_f64_e32 v[0:1], v[18:19], v[86:87]
	v_fmac_f64_e32 v[0:1], v[34:35], v[112:113]
	s_wait_loadcnt 0x0
	s_delay_alu instid0(VALU_DEP_1)
	v_fmac_f64_e32 v[0:1], v[52:53], v[6:7]
	scratch_load_b64 v[6:7], off, off offset:1184 ; 8-byte Folded Reload
	s_wait_loadcnt 0x0
	v_fmac_f64_e32 v[0:1], v[60:61], v[6:7]
	s_clause 0x1
	scratch_load_b64 v[6:7], off, off offset:1168
	scratch_store_b64 off, v[0:1], off offset:1752
	s_wait_xcnt 0x0
	v_fma_f64 v[0:1], v[14:15], v[12:13], 0
	s_delay_alu instid0(VALU_DEP_1) | instskip(SKIP_2) | instid1(VALU_DEP_1)
	v_fmac_f64_e32 v[0:1], v[26:27], v[4:5]
	scratch_load_b64 v[4:5], off, off offset:736 ; 8-byte Folded Reload
	v_fmac_f64_e32 v[0:1], v[28:29], v[84:85]
	v_fmac_f64_e32 v[0:1], v[30:31], v[32:33]
	s_wait_loadcnt 0x0
	s_delay_alu instid0(VALU_DEP_1)
	v_fmac_f64_e32 v[0:1], v[18:19], v[4:5]
	scratch_load_b64 v[4:5], off, off offset:752 ; 8-byte Folded Reload
	s_wait_loadcnt 0x0
	v_fmac_f64_e32 v[0:1], v[34:35], v[4:5]
	scratch_load_b64 v[4:5], off, off offset:784 ; 8-byte Folded Reload
	s_wait_loadcnt 0x0
	v_fmac_f64_e32 v[0:1], v[52:53], v[4:5]
	scratch_load_b64 v[4:5], off, off offset:816 ; 8-byte Folded Reload
	s_wait_loadcnt 0x0
	v_fmac_f64_e32 v[0:1], v[60:61], v[4:5]
	s_clause 0x1
	scratch_load_b64 v[4:5], off, off offset:1464
	scratch_store_b64 off, v[0:1], off offset:1760
	s_wait_xcnt 0x0
	v_fma_f64 v[0:1], v[14:15], v[10:11], 0
	s_delay_alu instid0(VALU_DEP_1) | instskip(SKIP_1) | instid1(VALU_DEP_1)
	v_fmac_f64_e32 v[0:1], v[26:27], v[6:7]
	s_wait_loadcnt 0x0
	v_fmac_f64_e32 v[0:1], v[28:29], v[4:5]
	s_delay_alu instid0(VALU_DEP_1) | instskip(NEXT) | instid1(VALU_DEP_1)
	v_fmac_f64_e32 v[0:1], v[30:31], v[2:3]
	v_fmac_f64_e32 v[0:1], v[18:19], v[88:89]
	s_delay_alu instid0(VALU_DEP_1)
	v_fmac_f64_e32 v[0:1], v[34:35], v[22:23]
	scratch_load_b64 v[22:23], off, off offset:688 ; 8-byte Folded Reload
	s_wait_loadcnt 0x0
	v_fmac_f64_e32 v[0:1], v[52:53], v[22:23]
	scratch_load_b64 v[22:23], off, off offset:416 ; 8-byte Folded Reload
	s_wait_loadcnt 0x0
	v_fmac_f64_e32 v[0:1], v[60:61], v[22:23]
	s_clause 0x1
	scratch_load_b64 v[22:23], off, off offset:1360 th:TH_LOAD_LU
	scratch_store_b64 off, v[0:1], off offset:1664
	s_wait_xcnt 0x0
	v_fma_f64 v[0:1], v[14:15], v[8:9], 0
	scratch_load_b64 v[14:15], off, off offset:1448 ; 8-byte Folded Reload
	v_fmac_f64_e32 v[0:1], v[26:27], v[38:39]
	scratch_load_b64 v[26:27], off, off offset:1400 th:TH_LOAD_LU ; 8-byte Folded Reload
	s_wait_loadcnt 0x1
	v_fmac_f64_e32 v[0:1], v[28:29], v[14:15]
	scratch_load_b64 v[28:29], off, off offset:1408 th:TH_LOAD_LU ; 8-byte Folded Reload
	v_fmac_f64_e32 v[0:1], v[30:31], v[110:111]
	v_mov_b64_e32 v[30:31], v[116:117]
	s_clause 0x1
	scratch_store_b64 off, v[106:107], off offset:448
	scratch_store_b64 off, v[30:31], off offset:528
	v_fmac_f64_e32 v[0:1], v[18:19], v[126:127]
	scratch_load_b64 v[18:19], off, off offset:624 ; 8-byte Folded Reload
	v_fmac_f64_e32 v[0:1], v[34:35], v[120:121]
	scratch_load_b64 v[34:35], off, off offset:1416 th:TH_LOAD_LU ; 8-byte Folded Reload
	v_fmac_f64_e32 v[0:1], v[52:53], v[124:125]
	v_mov_b64_e32 v[52:53], v[56:57]
	s_wait_loadcnt 0x1
	s_delay_alu instid0(VALU_DEP_2)
	v_fmac_f64_e32 v[0:1], v[60:61], v[18:19]
	v_mov_b64_e32 v[18:19], v[48:49]
	scratch_store_b64 off, v[0:1], off offset:1776 ; 8-byte Folded Spill
	s_wait_xcnt 0x0
	v_fma_f64 v[0:1], v[22:23], v[36:37], 0
	v_mov_b64_e32 v[36:37], v[80:81]
	s_clause 0x1
	scratch_store_b64 off, v[78:79], off offset:592
	scratch_store_b64 off, v[36:37], off offset:608
	v_fmac_f64_e32 v[0:1], v[26:27], v[56:57]
	v_mov_b64_e32 v[56:57], v[122:123]
	s_delay_alu instid0(VALU_DEP_2)
	v_fmac_f64_e32 v[0:1], v[28:29], v[40:41]
	v_mov_b64_e32 v[40:41], v[44:45]
	s_clause 0x1
	scratch_store_b64 off, v[62:63], off offset:872
	scratch_store_b64 off, v[40:41], off offset:896
	s_wait_loadcnt 0x0
	v_fmac_f64_e32 v[0:1], v[34:35], v[58:59]
	scratch_load_b64 v[58:59], off, off offset:1712 th:TH_LOAD_LU ; 8-byte Folded Reload
	s_wait_loadcnt 0x0
	v_fmac_f64_e32 v[0:1], v[58:59], v[70:71]
	scratch_load_b64 v[70:71], off, off offset:1896 th:TH_LOAD_LU ; 8-byte Folded Reload
	s_wait_loadcnt 0x0
	v_fmac_f64_e32 v[0:1], v[70:71], v[78:79]
	s_delay_alu instid0(VALU_DEP_1) | instskip(SKIP_1) | instid1(VALU_DEP_2)
	v_fmac_f64_e32 v[0:1], v[98:99], v[80:81]
	v_mov_b64_e32 v[80:81], v[8:9]
	v_fmac_f64_e32 v[0:1], v[82:83], v[42:43]
	s_clause 0x5
	scratch_store_b64 off, v[12:13], off offset:1488
	scratch_store_b64 off, v[0:1], off offset:1880
	;; [unrolled: 1-line block ×4, first 2 shown]
	scratch_load_b64 v[72:73], off, off offset:432
	scratch_load_b64 v[76:77], off, off offset:784
	s_wait_xcnt 0x4
	v_fma_f64 v[0:1], v[22:23], v[24:25], 0
	s_clause 0x6
	scratch_load_b64 v[114:115], off, off offset:888
	scratch_load_b64 v[60:61], off, off offset:1184 th:TH_LOAD_LU
	scratch_load_b64 v[42:43], off, off offset:400
	scratch_store_b64 off, v[68:69], off offset:560
	scratch_store_b64 off, v[88:89], off offset:656
	;; [unrolled: 1-line block ×4, first 2 shown]
	v_fmac_f64_e32 v[0:1], v[26:27], v[116:117]
	scratch_load_b64 v[116:117], off, off offset:864 ; 8-byte Folded Reload
	v_fmac_f64_e32 v[0:1], v[28:29], v[44:45]
	scratch_load_b64 v[44:45], off, off offset:512 ; 8-byte Folded Reload
	v_fmac_f64_e32 v[0:1], v[34:35], v[94:95]
	s_delay_alu instid0(VALU_DEP_1) | instskip(NEXT) | instid1(VALU_DEP_1)
	v_fmac_f64_e32 v[0:1], v[58:59], v[64:65]
	v_fmac_f64_e32 v[0:1], v[70:71], v[66:67]
	s_delay_alu instid0(VALU_DEP_1) | instskip(NEXT) | instid1(VALU_DEP_1)
	v_fmac_f64_e32 v[0:1], v[98:99], v[68:69]
	v_fmac_f64_e32 v[0:1], v[82:83], v[122:123]
	v_mov_b64_e32 v[122:123], v[16:17]
	scratch_store_b64 off, v[0:1], off offset:1384 ; 8-byte Folded Spill
	s_wait_xcnt 0x0
	v_fma_f64 v[0:1], v[22:23], v[20:21], 0
	s_wait_loadcnt 0x6
	s_delay_alu instid0(VALU_DEP_1) | instskip(NEXT) | instid1(VALU_DEP_1)
	v_fmac_f64_e32 v[0:1], v[26:27], v[72:73]
	v_fmac_f64_e32 v[0:1], v[28:29], v[74:75]
	scratch_load_b64 v[74:75], off, off offset:752 ; 8-byte Folded Reload
	v_fmac_f64_e32 v[0:1], v[34:35], v[102:103]
	s_delay_alu instid0(VALU_DEP_1) | instskip(SKIP_2) | instid1(VALU_DEP_2)
	v_fmac_f64_e32 v[0:1], v[58:59], v[96:97]
	v_mov_b64_e32 v[96:97], v[100:101]
	s_wait_loadcnt 0x1
	v_fmac_f64_e32 v[0:1], v[70:71], v[44:45]
	s_delay_alu instid0(VALU_DEP_1) | instskip(NEXT) | instid1(VALU_DEP_1)
	v_fmac_f64_e32 v[0:1], v[98:99], v[114:115]
	v_fmac_f64_e32 v[0:1], v[82:83], v[90:91]
	v_mov_b64_e32 v[90:91], v[4:5]
	scratch_store_b64 off, v[0:1], off offset:1424 ; 8-byte Folded Spill
	s_wait_xcnt 0x0
	v_fma_f64 v[0:1], v[22:23], v[100:101], 0
	v_mov_b64_e32 v[100:101], v[50:51]
	s_delay_alu instid0(VALU_DEP_2) | instskip(NEXT) | instid1(VALU_DEP_1)
	v_fmac_f64_e32 v[0:1], v[26:27], v[104:105]
	v_fmac_f64_e32 v[0:1], v[28:29], v[50:51]
	scratch_load_b64 v[50:51], off, off offset:480 ; 8-byte Folded Reload
	v_fmac_f64_e32 v[0:1], v[34:35], v[54:55]
	s_delay_alu instid0(VALU_DEP_1) | instskip(NEXT) | instid1(VALU_DEP_1)
	v_fmac_f64_e32 v[0:1], v[58:59], v[62:63]
	v_fmac_f64_e32 v[0:1], v[70:71], v[108:109]
	s_delay_alu instid0(VALU_DEP_1)
	v_fmac_f64_e32 v[0:1], v[98:99], v[106:107]
	scratch_load_b64 v[106:107], off, off offset:816 ; 8-byte Folded Reload
	s_wait_loadcnt 0x1
	v_fmac_f64_e32 v[0:1], v[82:83], v[50:51]
	scratch_store_b64 off, v[0:1], off offset:1432 ; 8-byte Folded Spill
	s_wait_xcnt 0x0
	v_fma_f64 v[0:1], v[22:23], v[16:17], 0
	s_delay_alu instid0(VALU_DEP_1) | instskip(NEXT) | instid1(VALU_DEP_1)
	v_fmac_f64_e32 v[0:1], v[26:27], v[118:119]
	v_fmac_f64_e32 v[0:1], v[28:29], v[48:49]
	v_mov_b64_e32 v[48:49], v[46:47]
	s_clause 0x1
	scratch_store_b64 off, v[118:119], off offset:768
	scratch_store_b64 off, v[48:49], off offset:672
	v_fmac_f64_e32 v[0:1], v[34:35], v[92:93]
	s_delay_alu instid0(VALU_DEP_1) | instskip(SKIP_3) | instid1(VALU_DEP_2)
	v_fmac_f64_e32 v[0:1], v[58:59], v[86:87]
	scratch_load_b64 v[86:87], off, off offset:688 ; 8-byte Folded Reload
	v_fmac_f64_e32 v[0:1], v[70:71], v[112:113]
	v_mov_b64_e32 v[112:113], v[10:11]
	v_fmac_f64_e32 v[0:1], v[98:99], v[116:117]
	s_delay_alu instid0(VALU_DEP_1) | instskip(SKIP_3) | instid1(VALU_DEP_1)
	v_fmac_f64_e32 v[0:1], v[82:83], v[60:61]
	scratch_store_b64 off, v[0:1], off offset:1888 ; 8-byte Folded Spill
	s_wait_xcnt 0x0
	v_fma_f64 v[0:1], v[22:23], v[12:13], 0
	v_fmac_f64_e32 v[0:1], v[26:27], v[46:47]
	scratch_load_b64 v[46:47], off, off offset:736 ; 8-byte Folded Reload
	v_fmac_f64_e32 v[0:1], v[28:29], v[84:85]
	s_delay_alu instid0(VALU_DEP_1) | instskip(SKIP_3) | instid1(VALU_DEP_1)
	v_fmac_f64_e32 v[0:1], v[34:35], v[32:33]
	scratch_load_b64 v[32:33], off, off offset:416 ; 8-byte Folded Reload
	s_wait_loadcnt 0x1
	v_fmac_f64_e32 v[0:1], v[58:59], v[46:47]
	v_fmac_f64_e32 v[0:1], v[70:71], v[74:75]
	s_delay_alu instid0(VALU_DEP_1) | instskip(NEXT) | instid1(VALU_DEP_1)
	v_fmac_f64_e32 v[0:1], v[98:99], v[76:77]
	v_fmac_f64_e32 v[0:1], v[82:83], v[106:107]
	scratch_store_b64 off, v[0:1], off offset:1608 ; 8-byte Folded Spill
	s_wait_xcnt 0x0
	v_fma_f64 v[0:1], v[22:23], v[10:11], 0
	s_delay_alu instid0(VALU_DEP_1) | instskip(NEXT) | instid1(VALU_DEP_1)
	v_fmac_f64_e32 v[0:1], v[26:27], v[6:7]
	v_fmac_f64_e32 v[0:1], v[28:29], v[4:5]
	v_mov_b64_e32 v[4:5], v[120:121]
	s_delay_alu instid0(VALU_DEP_2) | instskip(NEXT) | instid1(VALU_DEP_1)
	v_fmac_f64_e32 v[0:1], v[34:35], v[2:3]
	v_fmac_f64_e32 v[0:1], v[58:59], v[88:89]
	s_delay_alu instid0(VALU_DEP_1) | instskip(NEXT) | instid1(VALU_DEP_1)
	v_fmac_f64_e32 v[0:1], v[70:71], v[42:43]
	v_fmac_f64_e32 v[0:1], v[98:99], v[86:87]
	s_wait_loadcnt 0x0
	s_delay_alu instid0(VALU_DEP_1) | instskip(SKIP_3) | instid1(VALU_DEP_1)
	v_fmac_f64_e32 v[0:1], v[82:83], v[32:33]
	scratch_store_b64 off, v[0:1], off offset:1672 ; 8-byte Folded Spill
	s_wait_xcnt 0x0
	v_fma_f64 v[0:1], v[22:23], v[8:9], 0
	v_fmac_f64_e32 v[0:1], v[26:27], v[38:39]
	v_mov_b64_e32 v[38:39], v[14:15]
	s_delay_alu instid0(VALU_DEP_2) | instskip(SKIP_3) | instid1(VALU_DEP_2)
	v_fmac_f64_e32 v[0:1], v[28:29], v[14:15]
	scratch_load_b64 v[28:29], off, off offset:624 ; 8-byte Folded Reload
	v_fmac_f64_e32 v[0:1], v[34:35], v[110:111]
	v_mov_b64_e32 v[34:35], v[92:93]
	v_fmac_f64_e32 v[0:1], v[58:59], v[126:127]
	s_delay_alu instid0(VALU_DEP_1) | instskip(SKIP_1) | instid1(VALU_DEP_2)
	v_fmac_f64_e32 v[0:1], v[70:71], v[120:121]
	v_mov_b64_e32 v[120:121], v[50:51]
	v_fmac_f64_e32 v[0:1], v[98:99], v[124:125]
	s_wait_loadcnt 0x0
	s_delay_alu instid0(VALU_DEP_1)
	v_fmac_f64_e32 v[0:1], v[82:83], v[28:29]
	s_clause 0xf
	scratch_store_b64 off, v[66:67], off offset:920
	scratch_store_b64 off, v[122:123], off offset:1472
	;; [unrolled: 1-line block ×3, first 2 shown]
	scratch_load_b64 v[2:3], off, off offset:1352 th:TH_LOAD_LU
	scratch_load_b64 v[26:27], off, off offset:1176
	scratch_load_b64 v[6:7], off, off offset:1584 th:TH_LOAD_LU
	scratch_load_b64 v[8:9], off, off offset:1392 th:TH_LOAD_LU
	scratch_load_b64 v[70:71], off, off offset:936
	scratch_load_b64 v[10:11], off, off offset:1592 th:TH_LOAD_LU
	scratch_load_b64 v[58:59], off, off offset:952
	;; [unrolled: 2-line block ×3, first 2 shown]
	scratch_load_b64 v[14:15], off, off offset:1872 th:TH_LOAD_LU
	scratch_load_b64 v[16:17], off, off offset:1912 th:TH_LOAD_LU
	;; [unrolled: 1-line block ×3, first 2 shown]
	scratch_load_b64 v[84:85], off, off offset:960
	s_wait_loadcnt 0xb
	s_wait_xcnt 0xd
	v_fma_f64 v[0:1], v[2:3], v[26:27], 0
	s_wait_loadcnt 0xa
	s_delay_alu instid0(VALU_DEP_1) | instskip(SKIP_1) | instid1(VALU_DEP_1)
	v_fmac_f64_e32 v[0:1], v[6:7], v[52:53]
	s_wait_loadcnt 0x8
	v_fmac_f64_e32 v[0:1], v[8:9], v[70:71]
	s_wait_loadcnt 0x6
	s_delay_alu instid0(VALU_DEP_1) | instskip(SKIP_1) | instid1(VALU_DEP_1)
	v_fmac_f64_e32 v[0:1], v[10:11], v[58:59]
	s_wait_loadcnt 0x4
	v_fmac_f64_e32 v[0:1], v[12:13], v[82:83]
	s_wait_loadcnt 0x3
	s_delay_alu instid0(VALU_DEP_1) | instskip(SKIP_3) | instid1(VALU_DEP_3)
	v_fmac_f64_e32 v[0:1], v[14:15], v[78:79]
	v_mov_b64_e32 v[78:79], v[96:97]
	v_mov_b64_e32 v[96:97], v[54:55]
	s_wait_loadcnt 0x2
	v_fmac_f64_e32 v[0:1], v[16:17], v[36:37]
	s_wait_loadcnt 0x0
	s_delay_alu instid0(VALU_DEP_1)
	v_fmac_f64_e32 v[0:1], v[22:23], v[84:85]
	s_clause 0x1
	scratch_store_b64 off, v[0:1], off offset:1400
	scratch_store_b64 off, v[24:25], off offset:1480
	s_wait_xcnt 0x1
	v_fma_f64 v[0:1], v[2:3], v[24:25], 0
	s_clause 0x4
	scratch_load_b64 v[62:63], off, off offset:464
	scratch_load_b64 v[54:55], off, off offset:872
	scratch_store_b64 off, v[56:57], off offset:944
	scratch_store_b64 off, v[72:73], off offset:432
	;; [unrolled: 1-line block ×3, first 2 shown]
	v_fmac_f64_e32 v[0:1], v[6:7], v[30:31]
	v_mov_b64_e32 v[30:31], v[100:101]
	v_mov_b64_e32 v[100:101], v[74:75]
	s_delay_alu instid0(VALU_DEP_3) | instskip(NEXT) | instid1(VALU_DEP_1)
	v_fmac_f64_e32 v[0:1], v[8:9], v[40:41]
	v_fmac_f64_e32 v[0:1], v[10:11], v[94:95]
	v_mov_b64_e32 v[94:95], v[82:83]
	s_delay_alu instid0(VALU_DEP_2)
	v_fmac_f64_e32 v[0:1], v[12:13], v[64:65]
	v_mov_b64_e32 v[64:65], v[102:103]
	scratch_load_b64 v[102:103], off, off offset:904 ; 8-byte Folded Reload
	v_fmac_f64_e32 v[0:1], v[14:15], v[66:67]
	s_clause 0x1
	scratch_load_b64 v[66:67], off, off offset:496
	scratch_load_b64 v[40:41], off, off offset:448
	v_fmac_f64_e32 v[0:1], v[16:17], v[68:69]
	s_delay_alu instid0(VALU_DEP_1) | instskip(SKIP_3) | instid1(VALU_DEP_1)
	v_fmac_f64_e32 v[0:1], v[22:23], v[56:57]
	scratch_store_b64 off, v[0:1], off offset:1896 ; 8-byte Folded Spill
	s_wait_xcnt 0x0
	v_fma_f64 v[0:1], v[2:3], v[20:21], 0
	v_fmac_f64_e32 v[0:1], v[6:7], v[72:73]
	s_wait_loadcnt 0x4
	s_delay_alu instid0(VALU_DEP_1) | instskip(NEXT) | instid1(VALU_DEP_1)
	v_fmac_f64_e32 v[0:1], v[8:9], v[62:63]
	v_fmac_f64_e32 v[0:1], v[10:11], v[64:65]
	s_wait_loadcnt 0x1
	s_delay_alu instid0(VALU_DEP_1) | instskip(NEXT) | instid1(VALU_DEP_1)
	v_fmac_f64_e32 v[0:1], v[12:13], v[66:67]
	v_fmac_f64_e32 v[0:1], v[14:15], v[44:45]
	v_mov_b64_e32 v[44:45], v[90:91]
	v_mov_b64_e32 v[90:91], v[58:59]
	s_delay_alu instid0(VALU_DEP_3) | instskip(NEXT) | instid1(VALU_DEP_1)
	v_fmac_f64_e32 v[0:1], v[16:17], v[114:115]
	v_fmac_f64_e32 v[0:1], v[22:23], v[102:103]
	scratch_store_b64 off, v[0:1], off offset:1904 ; 8-byte Folded Spill
	s_wait_xcnt 0x0
	v_fma_f64 v[0:1], v[2:3], v[78:79], 0
	s_delay_alu instid0(VALU_DEP_1) | instskip(NEXT) | instid1(VALU_DEP_1)
	v_fmac_f64_e32 v[0:1], v[6:7], v[104:105]
	v_fmac_f64_e32 v[0:1], v[8:9], v[30:31]
	s_delay_alu instid0(VALU_DEP_1) | instskip(NEXT) | instid1(VALU_DEP_1)
	v_fmac_f64_e32 v[0:1], v[10:11], v[96:97]
	v_fmac_f64_e32 v[0:1], v[12:13], v[54:55]
	s_delay_alu instid0(VALU_DEP_1) | instskip(SKIP_1) | instid1(VALU_DEP_1)
	v_fmac_f64_e32 v[0:1], v[14:15], v[108:109]
	s_wait_loadcnt 0x0
	v_fmac_f64_e32 v[0:1], v[16:17], v[40:41]
	s_delay_alu instid0(VALU_DEP_1)
	v_fmac_f64_e32 v[0:1], v[22:23], v[50:51]
	s_clause 0x5
	scratch_store_b64 off, v[120:121], off offset:480
	scratch_store_b64 off, v[0:1], off offset:1928
	scratch_load_b64 v[36:37], off, off offset:832
	scratch_load_b64 v[92:93], off, off offset:848
	;; [unrolled: 1-line block ×4, first 2 shown]
	s_wait_xcnt 0x4
	v_fma_f64 v[0:1], v[2:3], v[122:123], 0
	scratch_store_b64 off, v[100:101], off offset:752 ; 8-byte Folded Spill
	v_fmac_f64_e32 v[0:1], v[6:7], v[118:119]
	v_mov_b64_e32 v[118:119], v[76:77]
	s_delay_alu instid0(VALU_DEP_2) | instskip(SKIP_3) | instid1(VALU_DEP_1)
	v_fmac_f64_e32 v[0:1], v[8:9], v[18:19]
	scratch_load_b64 v[18:19], off, off offset:1488 ; 8-byte Folded Reload
	v_fmac_f64_e32 v[0:1], v[10:11], v[34:35]
	s_wait_loadcnt 0x4
	v_fmac_f64_e32 v[0:1], v[12:13], v[36:37]
	s_wait_loadcnt 0x3
	s_delay_alu instid0(VALU_DEP_1) | instskip(NEXT) | instid1(VALU_DEP_1)
	v_fmac_f64_e32 v[0:1], v[14:15], v[92:93]
	v_fmac_f64_e32 v[0:1], v[16:17], v[116:117]
	v_mov_b64_e32 v[116:117], v[60:61]
	s_delay_alu instid0(VALU_DEP_2)
	v_fmac_f64_e32 v[0:1], v[22:23], v[60:61]
	v_mov_b64_e32 v[60:61], v[46:47]
	s_clause 0x1
	scratch_store_b64 off, v[60:61], off offset:736
	scratch_store_b64 off, v[0:1], off offset:1408
	s_wait_loadcnt 0x0
	v_fma_f64 v[0:1], v[2:3], v[18:19], 0
	s_delay_alu instid0(VALU_DEP_1) | instskip(NEXT) | instid1(VALU_DEP_1)
	v_fmac_f64_e32 v[0:1], v[6:7], v[48:49]
	v_fmac_f64_e32 v[0:1], v[8:9], v[68:69]
	s_delay_alu instid0(VALU_DEP_1) | instskip(NEXT) | instid1(VALU_DEP_1)
	v_fmac_f64_e32 v[0:1], v[10:11], v[98:99]
	v_fmac_f64_e32 v[0:1], v[12:13], v[46:47]
	v_mov_b64_e32 v[46:47], v[112:113]
	s_delay_alu instid0(VALU_DEP_2) | instskip(NEXT) | instid1(VALU_DEP_1)
	v_fmac_f64_e32 v[0:1], v[14:15], v[74:75]
	v_fmac_f64_e32 v[0:1], v[16:17], v[76:77]
	s_delay_alu instid0(VALU_DEP_1)
	v_fmac_f64_e32 v[0:1], v[22:23], v[106:107]
	s_clause 0x3
	scratch_store_b64 off, v[106:107], off offset:816
	scratch_store_b64 off, v[0:1], off offset:1416
	scratch_load_b64 v[50:51], off, off offset:1168
	scratch_load_b64 v[76:77], off, off offset:1456 th:TH_LOAD_LU
	s_wait_xcnt 0x2
	v_fma_f64 v[0:1], v[2:3], v[112:113], 0
	s_wait_loadcnt 0x1
	s_delay_alu instid0(VALU_DEP_1) | instskip(NEXT) | instid1(VALU_DEP_1)
	v_fmac_f64_e32 v[0:1], v[6:7], v[50:51]
	v_fmac_f64_e32 v[0:1], v[8:9], v[44:45]
	s_wait_loadcnt 0x0
	s_delay_alu instid0(VALU_DEP_1) | instskip(NEXT) | instid1(VALU_DEP_1)
	v_fmac_f64_e32 v[0:1], v[10:11], v[76:77]
	v_fmac_f64_e32 v[0:1], v[12:13], v[88:89]
	s_delay_alu instid0(VALU_DEP_1) | instskip(SKIP_1) | instid1(VALU_DEP_2)
	v_fmac_f64_e32 v[0:1], v[14:15], v[42:43]
	v_mov_b64_e32 v[42:43], v[20:21]
	v_fmac_f64_e32 v[0:1], v[16:17], v[86:87]
	v_mov_b64_e32 v[86:87], v[38:39]
	s_delay_alu instid0(VALU_DEP_2)
	v_fmac_f64_e32 v[0:1], v[22:23], v[32:33]
	s_clause 0x2
	scratch_store_b64 off, v[32:33], off offset:416
	scratch_store_b64 off, v[0:1], off offset:1712
	scratch_load_b64 v[74:75], off, off offset:1944 th:TH_LOAD_LU
	s_wait_xcnt 0x1
	v_fma_f64 v[0:1], v[2:3], v[80:81], 0
	s_wait_loadcnt 0x0
	s_delay_alu instid0(VALU_DEP_1)
	v_fmac_f64_e32 v[0:1], v[6:7], v[74:75]
	scratch_load_b64 v[6:7], off, off offset:1568 th:TH_LOAD_LU ; 8-byte Folded Reload
	v_fmac_f64_e32 v[0:1], v[8:9], v[38:39]
	scratch_load_b64 v[8:9], off, off offset:1368 th:TH_LOAD_LU ; 8-byte Folded Reload
	;; [unrolled: 2-line block ×3, first 2 shown]
	v_fmac_f64_e32 v[0:1], v[12:13], v[126:127]
	v_mov_b64_e32 v[12:13], v[52:53]
	scratch_store_b64 off, v[12:13], off offset:928 ; 8-byte Folded Spill
	v_fmac_f64_e32 v[0:1], v[14:15], v[4:5]
	v_mov_b64_e32 v[4:5], v[124:125]
	s_delay_alu instid0(VALU_DEP_2)
	v_fmac_f64_e32 v[0:1], v[16:17], v[124:125]
	scratch_load_b64 v[16:17], off, off offset:1576 th:TH_LOAD_LU ; 8-byte Folded Reload
	v_mov_b64_e32 v[124:125], v[64:65]
	v_fmac_f64_e32 v[0:1], v[22:23], v[28:29]
	s_clause 0x3
	scratch_store_b64 off, v[0:1], off offset:1352
	scratch_load_b64 v[0:1], off, off offset:1320 th:TH_LOAD_LU
	scratch_load_b64 v[22:23], off, off offset:1840 th:TH_LOAD_LU
	scratch_load_b64 v[38:39], off, off offset:592
	s_wait_loadcnt 0x2
	v_fma_f64 v[2:3], v[0:1], v[26:27], 0
	s_clause 0xb
	scratch_load_b64 v[26:27], off, off offset:1848 th:TH_LOAD_LU
	scratch_load_b64 v[58:59], off, off offset:608
	scratch_load_b64 v[28:29], off, off offset:1856 th:TH_LOAD_LU
	scratch_load_b64 v[82:83], off, off offset:528
	scratch_load_b64 v[80:81], off, off offset:544
	;; [unrolled: 1-line block ×6, first 2 shown]
	scratch_store_b64 off, v[108:109], off offset:880
	scratch_load_b64 v[110:111], off, off offset:800
	scratch_load_b64 v[14:15], off, off offset:864 th:TH_LOAD_LU
	v_fmac_f64_e32 v[2:3], v[6:7], v[52:53]
	scratch_load_b64 v[52:53], off, off offset:624 ; 8-byte Folded Reload
	v_fmac_f64_e32 v[2:3], v[8:9], v[70:71]
	s_delay_alu instid0(VALU_DEP_1) | instskip(NEXT) | instid1(VALU_DEP_1)
	v_fmac_f64_e32 v[2:3], v[10:11], v[90:91]
	v_fmac_f64_e32 v[2:3], v[16:17], v[94:95]
	s_wait_loadcnt 0xc
	s_delay_alu instid0(VALU_DEP_1) | instskip(SKIP_1) | instid1(VALU_DEP_1)
	v_fmac_f64_e32 v[2:3], v[22:23], v[38:39]
	s_wait_loadcnt 0xa
	v_fmac_f64_e32 v[2:3], v[26:27], v[58:59]
	s_wait_loadcnt 0x9
	s_delay_alu instid0(VALU_DEP_1)
	v_fmac_f64_e32 v[2:3], v[28:29], v[84:85]
	s_clause 0x1
	scratch_load_b64 v[84:85], off, off offset:912
	scratch_store_b64 off, v[2:3], off offset:1592
	s_wait_xcnt 0x0
	v_fma_f64 v[2:3], v[0:1], v[24:25], 0
	scratch_load_b64 v[24:25], off, off offset:1472 ; 8-byte Folded Reload
	s_wait_loadcnt 0xa
	v_fmac_f64_e32 v[2:3], v[6:7], v[82:83]
	s_wait_loadcnt 0x6
	s_delay_alu instid0(VALU_DEP_1) | instskip(NEXT) | instid1(VALU_DEP_1)
	v_fmac_f64_e32 v[2:3], v[8:9], v[48:49]
	v_fmac_f64_e32 v[2:3], v[10:11], v[80:81]
	s_wait_loadcnt 0x1
	s_delay_alu instid0(VALU_DEP_1) | instskip(NEXT) | instid1(VALU_DEP_1)
	v_fmac_f64_e32 v[2:3], v[16:17], v[84:85]
	v_fmac_f64_e32 v[2:3], v[22:23], v[122:123]
	s_delay_alu instid0(VALU_DEP_1) | instskip(NEXT) | instid1(VALU_DEP_1)
	v_fmac_f64_e32 v[2:3], v[26:27], v[88:89]
	v_fmac_f64_e32 v[2:3], v[28:29], v[56:57]
	v_mov_b64_e32 v[56:57], v[78:79]
	scratch_store_b64 off, v[2:3], off offset:1864 ; 8-byte Folded Spill
	s_wait_xcnt 0x0
	v_fma_f64 v[2:3], v[0:1], v[20:21], 0
	v_mov_b64_e32 v[20:21], v[126:127]
	v_mov_b64_e32 v[126:127], v[30:31]
	s_delay_alu instid0(VALU_DEP_3) | instskip(SKIP_1) | instid1(VALU_DEP_2)
	v_fmac_f64_e32 v[2:3], v[6:7], v[72:73]
	v_mov_b64_e32 v[72:73], v[96:97]
	v_fmac_f64_e32 v[2:3], v[8:9], v[62:63]
	v_mov_b64_e32 v[62:63], v[122:123]
	s_delay_alu instid0(VALU_DEP_2) | instskip(NEXT) | instid1(VALU_DEP_1)
	v_fmac_f64_e32 v[2:3], v[10:11], v[64:65]
	v_fmac_f64_e32 v[2:3], v[16:17], v[66:67]
	s_delay_alu instid0(VALU_DEP_1) | instskip(NEXT) | instid1(VALU_DEP_1)
	v_fmac_f64_e32 v[2:3], v[22:23], v[112:113]
	v_fmac_f64_e32 v[2:3], v[26:27], v[114:115]
	s_delay_alu instid0(VALU_DEP_1) | instskip(SKIP_4) | instid1(VALU_DEP_1)
	v_fmac_f64_e32 v[2:3], v[28:29], v[102:103]
	v_mov_b64_e32 v[102:103], v[36:37]
	scratch_store_b64 off, v[2:3], off offset:1872 ; 8-byte Folded Spill
	s_wait_xcnt 0x0
	v_fma_f64 v[2:3], v[0:1], v[78:79], 0
	v_fmac_f64_e32 v[2:3], v[6:7], v[104:105]
	s_delay_alu instid0(VALU_DEP_1) | instskip(SKIP_2) | instid1(VALU_DEP_3)
	v_fmac_f64_e32 v[2:3], v[8:9], v[30:31]
	v_mov_b64_e32 v[30:31], v[86:87]
	v_mov_b64_e32 v[86:87], v[70:71]
	v_fmac_f64_e32 v[2:3], v[10:11], v[96:97]
	v_mov_b64_e32 v[96:97], v[34:35]
	scratch_store_b64 off, v[114:115], off offset:888 ; 8-byte Folded Spill
	v_fmac_f64_e32 v[2:3], v[16:17], v[54:55]
	scratch_load_b64 v[54:55], off, off offset:768 ; 8-byte Folded Reload
	v_fmac_f64_e32 v[2:3], v[22:23], v[108:109]
	s_delay_alu instid0(VALU_DEP_1)
	v_fmac_f64_e32 v[2:3], v[26:27], v[40:41]
	scratch_load_b64 v[40:41], off, off offset:688 th:TH_LOAD_LU ; 8-byte Folded Reload
	v_fmac_f64_e32 v[2:3], v[28:29], v[120:121]
	v_mov_b64_e32 v[120:121], v[116:117]
	s_clause 0x1
	scratch_load_b64 v[116:117], off, off offset:672
	scratch_store_b64 off, v[2:3], off offset:1912
	s_wait_loadcnt 0x3
	s_wait_xcnt 0x0
	v_fma_f64 v[2:3], v[0:1], v[24:25], 0
	s_wait_loadcnt 0x2
	s_delay_alu instid0(VALU_DEP_1) | instskip(NEXT) | instid1(VALU_DEP_1)
	v_fmac_f64_e32 v[2:3], v[6:7], v[54:55]
	v_fmac_f64_e32 v[2:3], v[8:9], v[110:111]
	s_delay_alu instid0(VALU_DEP_1) | instskip(SKIP_4) | instid1(VALU_DEP_1)
	v_fmac_f64_e32 v[2:3], v[10:11], v[34:35]
	scratch_load_b64 v[34:35], off, off offset:656 ; 8-byte Folded Reload
	v_fmac_f64_e32 v[2:3], v[16:17], v[36:37]
	scratch_load_b64 v[36:37], off, off offset:400 ; 8-byte Folded Reload
	v_fmac_f64_e32 v[2:3], v[22:23], v[92:93]
	v_fmac_f64_e32 v[2:3], v[26:27], v[14:15]
	s_delay_alu instid0(VALU_DEP_1)
	v_fmac_f64_e32 v[2:3], v[28:29], v[120:121]
	s_clause 0x1
	scratch_store_b64 off, v[56:57], off offset:1952
	scratch_store_b64 off, v[2:3], off offset:1392
	s_wait_xcnt 0x0
	v_fma_f64 v[2:3], v[0:1], v[18:19], 0
	s_wait_loadcnt 0x2
	s_delay_alu instid0(VALU_DEP_1) | instskip(NEXT) | instid1(VALU_DEP_1)
	v_fmac_f64_e32 v[2:3], v[6:7], v[116:117]
	v_fmac_f64_e32 v[2:3], v[8:9], v[68:69]
	v_mov_b64_e32 v[68:69], v[20:21]
	s_delay_alu instid0(VALU_DEP_2) | instskip(SKIP_1) | instid1(VALU_DEP_2)
	v_fmac_f64_e32 v[2:3], v[10:11], v[98:99]
	v_mov_b64_e32 v[98:99], v[48:49]
	v_fmac_f64_e32 v[2:3], v[16:17], v[60:61]
	scratch_load_b64 v[60:61], off, off offset:1496 ; 8-byte Folded Reload
	v_fmac_f64_e32 v[2:3], v[22:23], v[100:101]
	v_mov_b64_e32 v[100:101], v[112:113]
	s_delay_alu instid0(VALU_DEP_2) | instskip(NEXT) | instid1(VALU_DEP_1)
	v_fmac_f64_e32 v[2:3], v[26:27], v[118:119]
	v_fmac_f64_e32 v[2:3], v[28:29], v[106:107]
	v_mov_b64_e32 v[106:107], v[42:43]
	scratch_store_b64 off, v[2:3], off offset:1584 ; 8-byte Folded Spill
	s_wait_xcnt 0x0
	v_fma_f64 v[2:3], v[0:1], v[46:47], 0
	s_delay_alu instid0(VALU_DEP_1) | instskip(SKIP_1) | instid1(VALU_DEP_2)
	v_fmac_f64_e32 v[2:3], v[6:7], v[50:51]
	v_mov_b64_e32 v[50:51], v[72:73]
	v_fmac_f64_e32 v[2:3], v[8:9], v[44:45]
	v_mov_b64_e32 v[44:45], v[126:127]
	v_mov_b64_e32 v[126:127], v[14:15]
	s_delay_alu instid0(VALU_DEP_3) | instskip(SKIP_1) | instid1(VALU_DEP_1)
	v_fmac_f64_e32 v[2:3], v[10:11], v[76:77]
	s_wait_loadcnt 0x2
	v_fmac_f64_e32 v[2:3], v[16:17], v[34:35]
	s_wait_loadcnt 0x1
	s_delay_alu instid0(VALU_DEP_1) | instskip(NEXT) | instid1(VALU_DEP_1)
	v_fmac_f64_e32 v[2:3], v[22:23], v[36:37]
	v_fmac_f64_e32 v[2:3], v[26:27], v[40:41]
	s_delay_alu instid0(VALU_DEP_1)
	v_fmac_f64_e32 v[2:3], v[28:29], v[32:33]
	scratch_load_b64 v[32:33], off, off offset:1440 th:TH_LOAD_LU ; 8-byte Folded Reload
	s_wait_loadcnt 0x1
	v_fma_f64 v[0:1], v[0:1], v[60:61], 0
	scratch_store_b64 off, v[2:3], off offset:1920 ; 8-byte Folded Spill
	v_fmac_f64_e32 v[0:1], v[6:7], v[74:75]
	s_delay_alu instid0(VALU_DEP_1) | instskip(SKIP_1) | instid1(VALU_DEP_1)
	v_fmac_f64_e32 v[0:1], v[8:9], v[30:31]
	s_wait_loadcnt 0x0
	v_fmac_f64_e32 v[0:1], v[10:11], v[32:33]
	s_delay_alu instid0(VALU_DEP_1) | instskip(SKIP_4) | instid1(VALU_DEP_2)
	v_fmac_f64_e32 v[0:1], v[16:17], v[20:21]
	scratch_load_b64 v[20:21], off, off offset:1112 th:TH_LOAD_LU ; 8-byte Folded Reload
	s_wait_loadcnt 0x0
	v_fmac_f64_e32 v[0:1], v[22:23], v[20:21]
	v_mov_b64_e32 v[22:23], v[4:5]
	v_fmac_f64_e32 v[0:1], v[26:27], v[4:5]
	s_delay_alu instid0(VALU_DEP_1)
	v_fmac_f64_e32 v[0:1], v[28:29], v[52:53]
	s_clause 0x8
	scratch_store_b64 off, v[96:97], off offset:1080
	scratch_store_b64 off, v[0:1], off offset:1320
	scratch_load_b64 v[0:1], off, off offset:1296 th:TH_LOAD_LU
	scratch_load_b64 v[8:9], off, off offset:1176
	scratch_load_b64 v[2:3], off, off offset:1328 th:TH_LOAD_LU
	scratch_load_b64 v[4:5], off, off offset:1336 th:TH_LOAD_LU
	;; [unrolled: 1-line block ×5, first 2 shown]
	s_wait_loadcnt 0x5
	v_fma_f64 v[26:27], v[0:1], v[8:9], 0
	s_wait_loadcnt 0x4
	s_delay_alu instid0(VALU_DEP_1)
	v_fmac_f64_e32 v[26:27], v[2:3], v[12:13]
	scratch_load_b64 v[12:13], off, off offset:1816 th:TH_LOAD_LU ; 8-byte Folded Reload
	s_wait_loadcnt 0x4
	v_fmac_f64_e32 v[26:27], v[4:5], v[70:71]
	s_clause 0x5
	scratch_load_b64 v[18:19], off, off offset:1832 th:TH_LOAD_LU
	scratch_load_b64 v[70:71], off, off offset:960 th:TH_LOAD_LU
	scratch_load_b64 v[66:67], off, off offset:1480
	scratch_load_b64 v[64:65], off, off offset:432
	;; [unrolled: 1-line block ×3, first 2 shown]
	scratch_load_b64 v[28:29], off, off offset:1488 th:TH_LOAD_LU
	s_wait_loadcnt 0x9
	v_fmac_f64_e32 v[26:27], v[6:7], v[90:91]
	s_wait_loadcnt 0x8
	s_delay_alu instid0(VALU_DEP_1)
	v_fmac_f64_e32 v[26:27], v[10:11], v[94:95]
	scratch_load_b64 v[94:95], off, off offset:704 th:TH_LOAD_LU ; 8-byte Folded Reload
	s_wait_loadcnt 0x7
	v_fmac_f64_e32 v[26:27], v[12:13], v[38:39]
	scratch_load_b64 v[38:39], off, off offset:1168 th:TH_LOAD_LU ; 8-byte Folded Reload
	v_fmac_f64_e32 v[26:27], v[16:17], v[58:59]
	v_mov_b64_e32 v[58:59], v[52:53]
	s_wait_loadcnt 0x6
	s_delay_alu instid0(VALU_DEP_2) | instskip(SKIP_4) | instid1(VALU_DEP_1)
	v_fmac_f64_e32 v[26:27], v[18:19], v[70:71]
	scratch_store_b64 off, v[26:27], off offset:1368 ; 8-byte Folded Spill
	s_wait_loadcnt 0x5
	s_wait_xcnt 0x0
	v_fma_f64 v[26:27], v[0:1], v[66:67], 0
	v_fmac_f64_e32 v[26:27], v[2:3], v[82:83]
	scratch_load_b64 v[82:83], off, off offset:464 ; 8-byte Folded Reload
	v_fmac_f64_e32 v[26:27], v[4:5], v[48:49]
	scratch_load_b64 v[48:49], off, off offset:944 ; 8-byte Folded Reload
	v_fmac_f64_e32 v[26:27], v[6:7], v[80:81]
	v_mov_b64_e32 v[80:81], v[68:69]
	s_delay_alu instid0(VALU_DEP_2) | instskip(NEXT) | instid1(VALU_DEP_1)
	v_fmac_f64_e32 v[26:27], v[10:11], v[84:85]
	v_fmac_f64_e32 v[26:27], v[12:13], v[122:123]
	s_clause 0x1
	scratch_load_b64 v[122:123], off, off offset:480
	scratch_load_b64 v[72:73], off, off offset:448
	v_fmac_f64_e32 v[26:27], v[16:17], v[88:89]
	v_mov_b64_e32 v[88:89], v[124:125]
	scratch_load_b64 v[124:125], off, off offset:904 th:TH_LOAD_LU ; 8-byte Folded Reload
	s_wait_loadcnt 0x3
	v_fmac_f64_e32 v[26:27], v[18:19], v[48:49]
	scratch_store_b64 off, v[26:27], off offset:1376 ; 8-byte Folded Spill
	s_wait_xcnt 0x0
	v_fma_f64 v[26:27], v[0:1], v[42:43], 0
	s_delay_alu instid0(VALU_DEP_1) | instskip(NEXT) | instid1(VALU_DEP_1)
	v_fmac_f64_e32 v[26:27], v[2:3], v[64:65]
	v_fmac_f64_e32 v[26:27], v[4:5], v[82:83]
	s_delay_alu instid0(VALU_DEP_1) | instskip(NEXT) | instid1(VALU_DEP_1)
	v_fmac_f64_e32 v[26:27], v[6:7], v[88:89]
	v_fmac_f64_e32 v[26:27], v[10:11], v[78:79]
	s_delay_alu instid0(VALU_DEP_1)
	v_fmac_f64_e32 v[26:27], v[12:13], v[112:113]
	scratch_load_b64 v[112:113], off, off offset:752 th:TH_LOAD_LU ; 8-byte Folded Reload
	v_fmac_f64_e32 v[26:27], v[16:17], v[114:115]
	v_mov_b64_e32 v[114:115], v[118:119]
	scratch_load_b64 v[118:119], off, off offset:816 th:TH_LOAD_LU ; 8-byte Folded Reload
	s_wait_loadcnt 0x2
	v_fmac_f64_e32 v[26:27], v[18:19], v[124:125]
	scratch_store_b64 off, v[26:27], off offset:1568 ; 8-byte Folded Spill
	s_wait_xcnt 0x0
	v_fma_f64 v[26:27], v[0:1], v[56:57], 0
	scratch_load_b64 v[56:57], off, off offset:872 th:TH_LOAD_LU ; 8-byte Folded Reload
	v_fmac_f64_e32 v[26:27], v[2:3], v[104:105]
	s_delay_alu instid0(VALU_DEP_1) | instskip(NEXT) | instid1(VALU_DEP_1)
	v_fmac_f64_e32 v[26:27], v[4:5], v[44:45]
	v_fmac_f64_e32 v[26:27], v[6:7], v[50:51]
	s_wait_loadcnt 0x0
	s_delay_alu instid0(VALU_DEP_1) | instskip(NEXT) | instid1(VALU_DEP_1)
	v_fmac_f64_e32 v[26:27], v[10:11], v[56:57]
	v_fmac_f64_e32 v[26:27], v[12:13], v[108:109]
	scratch_load_b64 v[108:109], off, off offset:720 th:TH_LOAD_LU ; 8-byte Folded Reload
	v_fmac_f64_e32 v[26:27], v[16:17], v[72:73]
	s_delay_alu instid0(VALU_DEP_1) | instskip(SKIP_3) | instid1(VALU_DEP_1)
	v_fmac_f64_e32 v[26:27], v[18:19], v[122:123]
	scratch_store_b64 off, v[26:27], off offset:1576 ; 8-byte Folded Spill
	s_wait_xcnt 0x0
	v_fma_f64 v[26:27], v[0:1], v[24:25], 0
	v_fmac_f64_e32 v[26:27], v[2:3], v[54:55]
	v_mov_b64_e32 v[54:55], v[46:47]
	v_mov_b64_e32 v[46:47], v[76:77]
	s_delay_alu instid0(VALU_DEP_2) | instskip(NEXT) | instid1(VALU_DEP_4)
	v_fma_f64 v[42:43], v[0:1], v[54:55], 0
	v_fmac_f64_e32 v[26:27], v[4:5], v[110:111]
	scratch_load_b64 v[110:111], off, off offset:736 th:TH_LOAD_LU ; 8-byte Folded Reload
	v_fmac_f64_e32 v[26:27], v[6:7], v[96:97]
	s_delay_alu instid0(VALU_DEP_1) | instskip(NEXT) | instid1(VALU_DEP_1)
	v_fmac_f64_e32 v[26:27], v[10:11], v[102:103]
	v_fmac_f64_e32 v[26:27], v[12:13], v[92:93]
	v_mov_b64_e32 v[92:93], v[20:21]
	s_delay_alu instid0(VALU_DEP_2) | instskip(SKIP_3) | instid1(VALU_DEP_4)
	v_fmac_f64_e32 v[26:27], v[16:17], v[14:15]
	v_fma_f64 v[14:15], v[0:1], v[28:29], 0
	v_fma_f64 v[0:1], v[0:1], v[60:61], 0
	v_mov_b64_e32 v[60:61], v[50:51]
	v_fmac_f64_e32 v[26:27], v[18:19], v[120:121]
	s_delay_alu instid0(VALU_DEP_4) | instskip(SKIP_1) | instid1(VALU_DEP_2)
	v_fmac_f64_e32 v[14:15], v[2:3], v[116:117]
	v_mov_b64_e32 v[116:117], v[40:41]
	v_fmac_f64_e32 v[14:15], v[4:5], v[94:95]
	s_wait_loadcnt 0x1
	s_delay_alu instid0(VALU_DEP_1) | instskip(SKIP_1) | instid1(VALU_DEP_1)
	v_fmac_f64_e32 v[14:15], v[6:7], v[108:109]
	s_wait_loadcnt 0x0
	v_fmac_f64_e32 v[14:15], v[10:11], v[110:111]
	s_delay_alu instid0(VALU_DEP_1) | instskip(NEXT) | instid1(VALU_DEP_1)
	v_fmac_f64_e32 v[14:15], v[12:13], v[112:113]
	v_fmac_f64_e32 v[14:15], v[16:17], v[114:115]
	s_delay_alu instid0(VALU_DEP_1)
	v_fmac_f64_e32 v[14:15], v[18:19], v[118:119]
	s_clause 0x3
	scratch_store_b64 off, v[26:27], off offset:1840
	scratch_load_b64 v[26:27], off, off offset:1464 th:TH_LOAD_LU
	scratch_store_b64 off, v[14:15], off offset:1848
	scratch_load_b64 v[14:15], off, off offset:416
	v_fmac_f64_e32 v[42:43], v[2:3], v[38:39]
	s_wait_loadcnt 0x1
	s_delay_alu instid0(VALU_DEP_1) | instskip(NEXT) | instid1(VALU_DEP_1)
	v_fmac_f64_e32 v[42:43], v[4:5], v[26:27]
	v_fmac_f64_e32 v[42:43], v[6:7], v[46:47]
	s_delay_alu instid0(VALU_DEP_1) | instskip(NEXT) | instid1(VALU_DEP_1)
	v_fmac_f64_e32 v[42:43], v[10:11], v[34:35]
	v_fmac_f64_e32 v[42:43], v[12:13], v[36:37]
	s_delay_alu instid0(VALU_DEP_1) | instskip(SKIP_2) | instid1(VALU_DEP_2)
	v_fmac_f64_e32 v[42:43], v[16:17], v[40:41]
	v_mov_b64_e32 v[40:41], v[32:33]
	s_wait_loadcnt 0x0
	v_fmac_f64_e32 v[42:43], v[18:19], v[14:15]
	scratch_store_b64 off, v[42:43], off offset:1856 ; 8-byte Folded Spill
	s_wait_xcnt 0x0
	v_mov_b64_e32 v[42:43], v[74:75]
	s_delay_alu instid0(VALU_DEP_1) | instskip(NEXT) | instid1(VALU_DEP_1)
	v_fmac_f64_e32 v[0:1], v[2:3], v[42:43]
	v_fmac_f64_e32 v[0:1], v[4:5], v[30:31]
	v_mov_b64_e32 v[30:31], v[66:67]
	s_delay_alu instid0(VALU_DEP_2) | instskip(NEXT) | instid1(VALU_DEP_1)
	v_fmac_f64_e32 v[0:1], v[6:7], v[32:33]
	v_fmac_f64_e32 v[0:1], v[10:11], v[68:69]
	s_delay_alu instid0(VALU_DEP_1) | instskip(NEXT) | instid1(VALU_DEP_1)
	v_fmac_f64_e32 v[0:1], v[12:13], v[20:21]
	v_fmac_f64_e32 v[0:1], v[16:17], v[22:23]
	s_delay_alu instid0(VALU_DEP_1)
	v_fmac_f64_e32 v[0:1], v[18:19], v[58:59]
	s_clause 0x2
	scratch_store_b64 off, v[88:89], off offset:1104
	scratch_store_b64 off, v[0:1], off offset:1296
	scratch_load_b64 v[0:1], off, off offset:1288 th:TH_LOAD_LU
	s_wait_loadcnt 0x0
	v_fma_f64 v[20:21], v[0:1], v[8:9], 0
	s_clause 0x11
	scratch_load_b64 v[2:3], off, off offset:1552 th:TH_LOAD_LU
	scratch_load_b64 v[8:9], off, off offset:928
	scratch_load_b64 v[4:5], off, off offset:1304 th:TH_LOAD_LU
	scratch_load_b64 v[6:7], off, off offset:1312 th:TH_LOAD_LU
	;; [unrolled: 1-line block ×3, first 2 shown]
	scratch_load_b64 v[74:75], off, off offset:576
	scratch_load_b64 v[12:13], off, off offset:1784 th:TH_LOAD_LU
	scratch_load_b64 v[76:77], off, off offset:592
	scratch_load_b64 v[16:17], off, off offset:1792 th:TH_LOAD_LU
	;; [unrolled: 2-line block ×3, first 2 shown]
	scratch_load_b64 v[52:53], off, off offset:1952 th:TH_LOAD_LU
	scratch_load_b64 v[68:69], off, off offset:528
	scratch_load_b64 v[66:67], off, off offset:544
	;; [unrolled: 1-line block ×3, first 2 shown]
	scratch_load_b64 v[34:35], off, off offset:832 th:TH_LOAD_LU
	scratch_load_b64 v[36:37], off, off offset:848 th:TH_LOAD_LU
	scratch_store_b64 off, v[114:115], off offset:784
	s_wait_loadcnt 0xf
	v_fmac_f64_e32 v[20:21], v[2:3], v[8:9]
	s_wait_loadcnt 0x5
	v_fma_f64 v[32:33], v[0:1], v[52:53], 0
	s_delay_alu instid0(VALU_DEP_2) | instskip(SKIP_1) | instid1(VALU_DEP_3)
	v_fmac_f64_e32 v[20:21], v[4:5], v[86:87]
	v_mov_b64_e32 v[86:87], v[70:71]
	v_fmac_f64_e32 v[32:33], v[2:3], v[104:105]
	s_delay_alu instid0(VALU_DEP_3) | instskip(NEXT) | instid1(VALU_DEP_2)
	v_fmac_f64_e32 v[20:21], v[6:7], v[90:91]
	v_fmac_f64_e32 v[32:33], v[4:5], v[44:45]
	s_delay_alu instid0(VALU_DEP_2) | instskip(NEXT) | instid1(VALU_DEP_2)
	v_fmac_f64_e32 v[20:21], v[10:11], v[74:75]
	v_fmac_f64_e32 v[32:33], v[6:7], v[50:51]
	scratch_load_b64 v[50:51], off, off offset:800 th:TH_LOAD_LU ; 8-byte Folded Reload
	v_fmac_f64_e32 v[20:21], v[12:13], v[76:77]
	v_fmac_f64_e32 v[32:33], v[10:11], v[56:57]
	s_delay_alu instid0(VALU_DEP_2) | instskip(NEXT) | instid1(VALU_DEP_1)
	v_fmac_f64_e32 v[20:21], v[16:17], v[96:97]
	v_fmac_f64_e32 v[20:21], v[18:19], v[70:71]
	v_mov_b64_e32 v[70:71], v[54:55]
	scratch_store_b64 off, v[20:21], off offset:1328 ; 8-byte Folded Spill
	s_wait_xcnt 0x0
	v_fma_f64 v[20:21], v[0:1], v[30:31], 0
	s_wait_loadcnt 0x5
	s_delay_alu instid0(VALU_DEP_1) | instskip(NEXT) | instid1(VALU_DEP_1)
	v_fmac_f64_e32 v[20:21], v[2:3], v[68:69]
	v_fmac_f64_e32 v[20:21], v[4:5], v[98:99]
	s_wait_loadcnt 0x4
	s_delay_alu instid0(VALU_DEP_1) | instskip(NEXT) | instid1(VALU_DEP_1)
	v_fmac_f64_e32 v[20:21], v[6:7], v[66:67]
	v_fmac_f64_e32 v[20:21], v[10:11], v[84:85]
	v_mov_b64_e32 v[84:85], v[106:107]
	s_delay_alu instid0(VALU_DEP_2) | instskip(SKIP_2) | instid1(VALU_DEP_2)
	v_fmac_f64_e32 v[20:21], v[12:13], v[62:63]
	v_fma_f64 v[62:63], v[0:1], v[28:29], 0
	s_wait_loadcnt 0x3
	v_fmac_f64_e32 v[20:21], v[16:17], v[102:103]
	s_delay_alu instid0(VALU_DEP_1)
	v_fmac_f64_e32 v[20:21], v[18:19], v[48:49]
	s_clause 0x1
	scratch_load_b64 v[48:49], off, off offset:768 th:TH_LOAD_LU
	scratch_store_b64 off, v[20:21], off offset:1824
	s_wait_xcnt 0x0
	v_fma_f64 v[20:21], v[0:1], v[106:107], 0
	scratch_load_b64 v[106:107], off, off offset:400 th:TH_LOAD_LU ; 8-byte Folded Reload
	v_fmac_f64_e32 v[20:21], v[2:3], v[64:65]
	v_mov_b64_e32 v[64:65], v[56:57]
	v_fma_f64 v[56:57], v[0:1], v[24:25], 0
	s_delay_alu instid0(VALU_DEP_3) | instskip(NEXT) | instid1(VALU_DEP_1)
	v_fmac_f64_e32 v[20:21], v[4:5], v[82:83]
	v_fmac_f64_e32 v[20:21], v[6:7], v[88:89]
	v_mov_b64_e32 v[88:89], v[44:45]
	v_mov_b64_e32 v[44:45], v[72:73]
	;; [unrolled: 1-line block ×4, first 2 shown]
	scratch_store_b64 off, v[88:89], off offset:1088 ; 8-byte Folded Spill
	v_fmac_f64_e32 v[20:21], v[10:11], v[78:79]
	v_mov_b64_e32 v[78:79], v[126:127]
	scratch_load_b64 v[126:127], off, off offset:656 th:TH_LOAD_LU ; 8-byte Folded Reload
	v_fmac_f64_e32 v[20:21], v[12:13], v[100:101]
	scratch_load_b64 v[100:101], off, off offset:888 th:TH_LOAD_LU ; 8-byte Folded Reload
	s_wait_loadcnt 0x3
	v_fmac_f64_e32 v[56:57], v[2:3], v[48:49]
	s_delay_alu instid0(VALU_DEP_1) | instskip(SKIP_2) | instid1(VALU_DEP_1)
	v_fmac_f64_e32 v[56:57], v[4:5], v[50:51]
	s_wait_loadcnt 0x0
	v_fmac_f64_e32 v[20:21], v[16:17], v[100:101]
	v_fmac_f64_e32 v[20:21], v[18:19], v[124:125]
	s_clause 0x1
	scratch_store_b64 off, v[20:21], off offset:1344
	scratch_load_b64 v[20:21], off, off offset:880
	s_wait_loadcnt 0x0
	v_fmac_f64_e32 v[32:33], v[12:13], v[20:21]
	s_delay_alu instid0(VALU_DEP_1) | instskip(NEXT) | instid1(VALU_DEP_1)
	v_fmac_f64_e32 v[32:33], v[16:17], v[44:45]
	v_fmac_f64_e32 v[32:33], v[18:19], v[122:123]
	s_clause 0x1
	scratch_store_b64 off, v[32:33], off offset:1816
	scratch_load_b64 v[32:33], off, off offset:1080 th:TH_LOAD_LU
	s_wait_loadcnt 0x0
	v_fmac_f64_e32 v[56:57], v[6:7], v[32:33]
	s_delay_alu instid0(VALU_DEP_1) | instskip(NEXT) | instid1(VALU_DEP_1)
	v_fmac_f64_e32 v[56:57], v[10:11], v[34:35]
	v_fmac_f64_e32 v[56:57], v[12:13], v[36:37]
	s_delay_alu instid0(VALU_DEP_1) | instskip(NEXT) | instid1(VALU_DEP_1)
	v_fmac_f64_e32 v[56:57], v[16:17], v[78:79]
	v_fmac_f64_e32 v[56:57], v[18:19], v[120:121]
	s_clause 0x2
	scratch_store_b64 off, v[84:85], off offset:1936
	scratch_store_b64 off, v[56:57], off offset:1336
	scratch_load_b64 v[56:57], off, off offset:672 th:TH_LOAD_LU
	s_wait_loadcnt 0x0
	v_fmac_f64_e32 v[62:63], v[2:3], v[56:57]
	s_delay_alu instid0(VALU_DEP_1) | instskip(NEXT) | instid1(VALU_DEP_1)
	v_fmac_f64_e32 v[62:63], v[4:5], v[94:95]
	v_fmac_f64_e32 v[62:63], v[6:7], v[108:109]
	s_delay_alu instid0(VALU_DEP_1) | instskip(NEXT) | instid1(VALU_DEP_1)
	v_fmac_f64_e32 v[62:63], v[10:11], v[110:111]
	;; [unrolled: 3-line block ×3, first 2 shown]
	v_fmac_f64_e32 v[62:63], v[18:19], v[118:119]
	scratch_store_b64 off, v[62:63], off offset:1808 ; 8-byte Folded Spill
	s_wait_xcnt 0x0
	v_fma_f64 v[62:63], v[0:1], v[54:55], 0
	v_mov_b64_e32 v[54:55], v[38:39]
	s_delay_alu instid0(VALU_DEP_2) | instskip(NEXT) | instid1(VALU_DEP_1)
	v_fmac_f64_e32 v[62:63], v[2:3], v[38:39]
	v_fmac_f64_e32 v[62:63], v[4:5], v[26:27]
	v_mov_b64_e32 v[26:27], v[46:47]
	s_delay_alu instid0(VALU_DEP_2) | instskip(SKIP_2) | instid1(VALU_DEP_1)
	v_fmac_f64_e32 v[62:63], v[6:7], v[46:47]
	scratch_load_b64 v[46:47], off, off offset:1496 th:TH_LOAD_LU ; 8-byte Folded Reload
	v_fmac_f64_e32 v[62:63], v[10:11], v[126:127]
	v_fmac_f64_e32 v[62:63], v[12:13], v[106:107]
	s_delay_alu instid0(VALU_DEP_1) | instskip(NEXT) | instid1(VALU_DEP_1)
	v_fmac_f64_e32 v[62:63], v[16:17], v[116:117]
	v_fmac_f64_e32 v[62:63], v[18:19], v[14:15]
	v_mov_b64_e32 v[14:15], v[92:93]
	s_clause 0x1
	scratch_store_b64 off, v[62:63], off offset:1832
	scratch_load_b64 v[62:63], off, off offset:1448 th:TH_LOAD_LU
	s_wait_loadcnt 0x1
	v_fma_f64 v[0:1], v[0:1], v[46:47], 0
	s_delay_alu instid0(VALU_DEP_1) | instskip(SKIP_2) | instid1(VALU_DEP_2)
	v_fmac_f64_e32 v[0:1], v[2:3], v[42:43]
	v_mov_b64_e32 v[2:3], v[40:41]
	s_wait_loadcnt 0x0
	v_fmac_f64_e32 v[0:1], v[4:5], v[62:63]
	s_delay_alu instid0(VALU_DEP_1) | instskip(NEXT) | instid1(VALU_DEP_1)
	v_fmac_f64_e32 v[0:1], v[6:7], v[40:41]
	v_fmac_f64_e32 v[0:1], v[10:11], v[80:81]
	s_delay_alu instid0(VALU_DEP_1) | instskip(NEXT) | instid1(VALU_DEP_1)
	v_fmac_f64_e32 v[0:1], v[12:13], v[92:93]
	v_fmac_f64_e32 v[0:1], v[16:17], v[22:23]
	s_delay_alu instid0(VALU_DEP_1)
	v_fmac_f64_e32 v[0:1], v[18:19], v[58:59]
	s_clause 0xc
	scratch_store_b64 off, v[60:61], off offset:1096
	scratch_store_b64 off, v[0:1], off offset:1288
	scratch_load_b64 v[0:1], off, off offset:1272 th:TH_LOAD_LU
	scratch_load_b64 v[58:59], off, off offset:1176 th:TH_LOAD_LU
	;; [unrolled: 1-line block ×11, first 2 shown]
	s_wait_loadcnt 0x9
	v_fma_f64 v[18:19], v[0:1], v[58:59], 0
	s_wait_loadcnt 0x8
	s_delay_alu instid0(VALU_DEP_1) | instskip(SKIP_4) | instid1(VALU_DEP_1)
	v_fmac_f64_e32 v[18:19], v[4:5], v[8:9]
	scratch_load_b64 v[8:9], off, off offset:624 th:TH_LOAD_LU ; 8-byte Folded Reload
	s_wait_loadcnt 0x7
	v_fmac_f64_e32 v[18:19], v[6:7], v[82:83]
	s_wait_loadcnt 0x6
	v_fmac_f64_e32 v[18:19], v[10:11], v[90:91]
	scratch_load_b64 v[90:91], off, off offset:496 th:TH_LOAD_LU ; 8-byte Folded Reload
	s_wait_loadcnt 0x6
	v_fmac_f64_e32 v[18:19], v[12:13], v[74:75]
	v_fma_f64 v[74:75], v[0:1], v[30:31], 0
	scratch_load_b64 v[30:31], off, off offset:912 th:TH_LOAD_LU ; 8-byte Folded Reload
	s_wait_loadcnt 0x6
	v_fmac_f64_e32 v[18:19], v[16:17], v[76:77]
	v_fmac_f64_e32 v[74:75], v[4:5], v[68:69]
	scratch_load_b64 v[68:69], off, off offset:432 th:TH_LOAD_LU ; 8-byte Folded Reload
	s_wait_loadcnt 0x6
	v_fmac_f64_e32 v[18:19], v[38:39], v[96:97]
	v_fmac_f64_e32 v[74:75], v[6:7], v[98:99]
	v_fma_f64 v[98:99], v[0:1], v[52:53], 0
	scratch_load_b64 v[96:97], off, off offset:464 th:TH_LOAD_LU ; 8-byte Folded Reload
	s_wait_loadcnt 0x6
	v_fmac_f64_e32 v[18:19], v[40:41], v[86:87]
	v_fmac_f64_e32 v[74:75], v[10:11], v[66:67]
	;; [unrolled: 1-line block ×3, first 2 shown]
	v_mov_b64_e32 v[66:67], v[124:125]
	s_clause 0x2
	scratch_load_b64 v[124:125], off, off offset:416 th:TH_LOAD_LU
	scratch_store_b64 off, v[18:19], off offset:1304
	scratch_load_b64 v[18:19], off, off offset:944 th:TH_LOAD_LU
	v_fmac_f64_e32 v[98:99], v[6:7], v[88:89]
	v_mov_b64_e32 v[88:89], v[48:49]
	s_delay_alu instid0(VALU_DEP_2) | instskip(SKIP_1) | instid1(VALU_DEP_2)
	v_fmac_f64_e32 v[98:99], v[10:11], v[60:61]
	v_mov_b64_e32 v[60:61], v[32:33]
	v_fmac_f64_e32 v[98:99], v[12:13], v[64:65]
	s_delay_alu instid0(VALU_DEP_1) | instskip(SKIP_1) | instid1(VALU_DEP_2)
	v_fmac_f64_e32 v[98:99], v[16:17], v[20:21]
	v_fma_f64 v[20:21], v[0:1], v[46:47], 0
	v_fmac_f64_e32 v[98:99], v[38:39], v[44:45]
	v_fma_f64 v[44:45], v[0:1], v[24:25], 0
	v_fma_f64 v[24:25], v[0:1], v[70:71], 0
	s_delay_alu instid0(VALU_DEP_4) | instskip(NEXT) | instid1(VALU_DEP_4)
	v_fmac_f64_e32 v[20:21], v[4:5], v[42:43]
	v_fmac_f64_e32 v[98:99], v[40:41], v[122:123]
	s_delay_alu instid0(VALU_DEP_4) | instskip(SKIP_3) | instid1(VALU_DEP_4)
	v_fmac_f64_e32 v[44:45], v[4:5], v[48:49]
	v_mov_b64_e32 v[122:123], v[56:57]
	v_fmac_f64_e32 v[24:25], v[4:5], v[54:55]
	v_fmac_f64_e32 v[20:21], v[6:7], v[62:63]
	;; [unrolled: 1-line block ×3, first 2 shown]
	s_delay_alu instid0(VALU_DEP_3) | instskip(NEXT) | instid1(VALU_DEP_3)
	v_fmac_f64_e32 v[24:25], v[6:7], v[28:29]
	v_fmac_f64_e32 v[20:21], v[10:11], v[2:3]
	s_delay_alu instid0(VALU_DEP_3) | instskip(SKIP_1) | instid1(VALU_DEP_4)
	v_fmac_f64_e32 v[44:45], v[10:11], v[32:33]
	v_fma_f64 v[32:33], v[0:1], v[72:73], 0
	v_fmac_f64_e32 v[24:25], v[10:11], v[26:27]
	s_delay_alu instid0(VALU_DEP_4) | instskip(NEXT) | instid1(VALU_DEP_4)
	v_fmac_f64_e32 v[20:21], v[12:13], v[80:81]
	v_fmac_f64_e32 v[44:45], v[12:13], v[34:35]
	s_delay_alu instid0(VALU_DEP_4)
	v_fmac_f64_e32 v[32:33], v[4:5], v[56:57]
	scratch_load_b64 v[56:57], off, off offset:1264 th:TH_LOAD_LU ; 8-byte Folded Reload
	s_wait_loadcnt 0x5
	v_fmac_f64_e32 v[74:75], v[12:13], v[30:31]
	v_fmac_f64_e32 v[24:25], v[12:13], v[126:127]
	v_fmac_f64_e32 v[20:21], v[16:17], v[14:15]
	v_fmac_f64_e32 v[44:45], v[16:17], v[36:37]
	v_fmac_f64_e32 v[32:33], v[6:7], v[94:95]
	v_fmac_f64_e32 v[74:75], v[16:17], v[92:93]
	v_fmac_f64_e32 v[24:25], v[16:17], v[106:107]
	v_fmac_f64_e32 v[20:21], v[38:39], v[22:23]
	v_fmac_f64_e32 v[44:45], v[38:39], v[78:79]
	v_fmac_f64_e32 v[32:33], v[10:11], v[108:109]
	v_fmac_f64_e32 v[74:75], v[38:39], v[102:103]
	v_fma_f64 v[102:103], v[0:1], v[84:85], 0
	scratch_load_b64 v[84:85], off, off offset:512 th:TH_LOAD_LU ; 8-byte Folded Reload
	v_fmac_f64_e32 v[24:25], v[38:39], v[116:117]
	v_mov_b64_e32 v[0:1], v[46:47]
	v_fmac_f64_e32 v[20:21], v[40:41], v[8:9]
	v_fmac_f64_e32 v[44:45], v[40:41], v[120:121]
	;; [unrolled: 1-line block ×3, first 2 shown]
	s_wait_loadcnt 0x2
	v_fmac_f64_e32 v[74:75], v[40:41], v[18:19]
	v_fmac_f64_e32 v[102:103], v[4:5], v[68:69]
	;; [unrolled: 1-line block ×3, first 2 shown]
	s_delay_alu instid0(VALU_DEP_4)
	v_fmac_f64_e32 v[32:33], v[16:17], v[112:113]
	s_clause 0x3
	scratch_store_b64 off, v[74:75], off offset:1312
	scratch_load_b64 v[74:75], off, off offset:1104 th:TH_LOAD_LU
	scratch_load_b64 v[76:77], off, off offset:1256 th:TH_LOAD_LU
	;; [unrolled: 1-line block ×3, first 2 shown]
	v_fmac_f64_e32 v[102:103], v[6:7], v[96:97]
	v_fmac_f64_e32 v[32:33], v[38:39], v[114:115]
	s_delay_alu instid0(VALU_DEP_1)
	v_fmac_f64_e32 v[32:33], v[40:41], v[118:119]
	s_wait_loadcnt 0x4
	v_fma_f64 v[46:47], v[56:57], v[58:59], 0
	v_fma_f64 v[58:59], v[56:57], v[72:73], 0
	s_wait_loadcnt 0x2
	v_fmac_f64_e32 v[102:103], v[10:11], v[74:75]
	s_wait_loadcnt 0x0
	s_delay_alu instid0(VALU_DEP_3) | instskip(NEXT) | instid1(VALU_DEP_3)
	v_fmac_f64_e32 v[46:47], v[76:77], v[4:5]
	v_fmac_f64_e32 v[58:59], v[76:77], v[122:123]
	s_delay_alu instid0(VALU_DEP_3) | instskip(NEXT) | instid1(VALU_DEP_1)
	v_fmac_f64_e32 v[102:103], v[12:13], v[90:91]
	v_fmac_f64_e32 v[102:103], v[16:17], v[84:85]
	s_delay_alu instid0(VALU_DEP_1)
	v_fmac_f64_e32 v[102:103], v[38:39], v[100:101]
	s_clause 0x2
	scratch_load_b64 v[38:39], off, off offset:1248 th:TH_LOAD_LU
	scratch_load_b64 v[12:13], off, off offset:1520 th:TH_LOAD_LU
	;; [unrolled: 1-line block ×3, first 2 shown]
	v_fmac_f64_e32 v[102:103], v[40:41], v[66:67]
	s_wait_loadcnt 0x2
	v_fmac_f64_e32 v[46:47], v[38:39], v[82:83]
	v_fmac_f64_e32 v[58:59], v[38:39], v[94:95]
	s_wait_loadcnt 0x0
	s_delay_alu instid0(VALU_DEP_2)
	v_fmac_f64_e32 v[46:47], v[12:13], v[4:5]
	s_clause 0x1
	scratch_load_b64 v[10:11], off, off offset:1512 th:TH_LOAD_LU
	scratch_load_b64 v[4:5], off, off offset:576 th:TH_LOAD_LU
	v_fmac_f64_e32 v[58:59], v[12:13], v[108:109]
	s_wait_loadcnt 0x1
	s_delay_alu instid0(VALU_DEP_1)
	v_fmac_f64_e32 v[58:59], v[10:11], v[110:111]
	s_wait_loadcnt 0x0
	v_fmac_f64_e32 v[46:47], v[10:11], v[4:5]
	s_clause 0x1
	scratch_load_b64 v[4:5], off, off offset:1656 th:TH_LOAD_LU
	scratch_load_b64 v[6:7], off, off offset:592 th:TH_LOAD_LU
	s_wait_loadcnt 0x1
	v_fmac_f64_e32 v[58:59], v[4:5], v[112:113]
	s_wait_loadcnt 0x0
	v_fmac_f64_e32 v[46:47], v[4:5], v[6:7]
	s_clause 0x2
	scratch_load_b64 v[6:7], off, off offset:1648 th:TH_LOAD_LU
	scratch_load_b64 v[16:17], off, off offset:608 th:TH_LOAD_LU
	;; [unrolled: 1-line block ×3, first 2 shown]
	s_wait_loadcnt 0x1
	v_fmac_f64_e32 v[46:47], v[6:7], v[16:17]
	scratch_load_b64 v[16:17], off, off offset:1480 th:TH_LOAD_LU ; 8-byte Folded Reload
	s_wait_loadcnt 0x0
	v_fma_f64 v[114:115], v[56:57], v[16:17], 0
	scratch_load_b64 v[16:17], off, off offset:528 th:TH_LOAD_LU ; 8-byte Folded Reload
	v_fmac_f64_e32 v[46:47], v[40:41], v[86:87]
	s_wait_loadcnt 0x0
	v_fmac_f64_e32 v[114:115], v[76:77], v[16:17]
	scratch_load_b64 v[16:17], off, off offset:896 th:TH_LOAD_LU ; 8-byte Folded Reload
	s_wait_loadcnt 0x0
	v_fmac_f64_e32 v[114:115], v[38:39], v[16:17]
	scratch_load_b64 v[16:17], off, off offset:544 th:TH_LOAD_LU ; 8-byte Folded Reload
	;; [unrolled: 3-line block ×3, first 2 shown]
	v_fmac_f64_e32 v[114:115], v[10:11], v[30:31]
	s_delay_alu instid0(VALU_DEP_1) | instskip(SKIP_1) | instid1(VALU_DEP_1)
	v_fmac_f64_e32 v[114:115], v[4:5], v[92:93]
	s_wait_loadcnt 0x0
	v_fmac_f64_e32 v[114:115], v[6:7], v[16:17]
	scratch_load_b64 v[16:17], off, off offset:1936 th:TH_LOAD_LU ; 8-byte Folded Reload
	v_fmac_f64_e32 v[114:115], v[40:41], v[18:19]
	scratch_load_b64 v[18:19], off, off offset:1088 th:TH_LOAD_LU ; 8-byte Folded Reload
	s_wait_loadcnt 0x1
	v_fma_f64 v[48:49], v[56:57], v[16:17], 0
	v_fma_f64 v[16:17], v[56:57], v[52:53], 0
	s_delay_alu instid0(VALU_DEP_2) | instskip(NEXT) | instid1(VALU_DEP_2)
	v_fmac_f64_e32 v[48:49], v[76:77], v[68:69]
	v_fmac_f64_e32 v[16:17], v[76:77], v[104:105]
	v_fma_f64 v[68:69], v[56:57], v[70:71], 0
	s_delay_alu instid0(VALU_DEP_3) | instskip(SKIP_1) | instid1(VALU_DEP_3)
	v_fmac_f64_e32 v[48:49], v[38:39], v[96:97]
	s_wait_loadcnt 0x0
	v_fmac_f64_e32 v[16:17], v[38:39], v[18:19]
	scratch_load_b64 v[18:19], off, off offset:1096 th:TH_LOAD_LU ; 8-byte Folded Reload
	v_fmac_f64_e32 v[68:69], v[76:77], v[54:55]
	v_fmac_f64_e32 v[48:49], v[12:13], v[74:75]
	s_delay_alu instid0(VALU_DEP_2) | instskip(NEXT) | instid1(VALU_DEP_2)
	v_fmac_f64_e32 v[68:69], v[38:39], v[28:29]
	v_fmac_f64_e32 v[48:49], v[10:11], v[90:91]
	s_delay_alu instid0(VALU_DEP_2) | instskip(NEXT) | instid1(VALU_DEP_2)
	;; [unrolled: 3-line block ×4, first 2 shown]
	v_fmac_f64_e32 v[68:69], v[4:5], v[106:107]
	v_fmac_f64_e32 v[48:49], v[40:41], v[66:67]
	s_delay_alu instid0(VALU_DEP_2) | instskip(NEXT) | instid1(VALU_DEP_1)
	v_fmac_f64_e32 v[68:69], v[6:7], v[116:117]
	v_fmac_f64_e32 v[68:69], v[40:41], v[124:125]
	s_wait_loadcnt 0x0
	v_fmac_f64_e32 v[16:17], v[12:13], v[18:19]
	scratch_load_b64 v[18:19], off, off offset:880 th:TH_LOAD_LU ; 8-byte Folded Reload
	v_fmac_f64_e32 v[16:17], v[10:11], v[64:65]
	s_wait_loadcnt 0x0
	s_delay_alu instid0(VALU_DEP_1)
	v_fmac_f64_e32 v[16:17], v[4:5], v[18:19]
	scratch_load_b64 v[18:19], off, off offset:448 th:TH_LOAD_LU ; 8-byte Folded Reload
	s_wait_loadcnt 0x0
	v_fmac_f64_e32 v[16:17], v[6:7], v[18:19]
	scratch_load_b64 v[18:19], off, off offset:480 th:TH_LOAD_LU ; 8-byte Folded Reload
	s_wait_loadcnt 0x0
	;; [unrolled: 3-line block ×3, first 2 shown]
	v_fma_f64 v[64:65], v[56:57], v[18:19], 0
	scratch_load_b64 v[18:19], off, off offset:784 th:TH_LOAD_LU ; 8-byte Folded Reload
	v_fma_f64 v[56:57], v[56:57], v[0:1], 0
	v_fmac_f64_e32 v[64:65], v[76:77], v[88:89]
	s_delay_alu instid0(VALU_DEP_2) | instskip(NEXT) | instid1(VALU_DEP_2)
	v_fmac_f64_e32 v[56:57], v[76:77], v[42:43]
	v_fmac_f64_e32 v[64:65], v[38:39], v[50:51]
	s_delay_alu instid0(VALU_DEP_2) | instskip(NEXT) | instid1(VALU_DEP_2)
	v_fmac_f64_e32 v[56:57], v[38:39], v[62:63]
	;; [unrolled: 3-line block ×6, first 2 shown]
	v_fmac_f64_e32 v[64:65], v[40:41], v[120:121]
	s_delay_alu instid0(VALU_DEP_2)
	v_fmac_f64_e32 v[56:57], v[40:41], v[8:9]
	s_wait_loadcnt 0x0
	v_fmac_f64_e32 v[58:59], v[6:7], v[18:19]
	s_clause 0x1
	scratch_load_b128 v[4:7], off, off offset:2008
	scratch_load_b64 v[0:1], off, off offset:1720 th:TH_LOAD_LU
	v_fmac_f64_e32 v[58:59], v[40:41], v[118:119]
	s_wait_loadcnt 0x0
	v_add_f64_e32 v[38:39], v[4:5], v[0:1]
	scratch_load_b64 v[0:1], off, off offset:1880 th:TH_LOAD_LU ; 8-byte Folded Reload
	s_wait_loadcnt 0x0
	v_add_f64_e32 v[40:41], v[6:7], v[0:1]
	s_clause 0x1
	scratch_load_b128 v[4:7], off, off offset:1992
	scratch_load_b64 v[0:1], off, off offset:1400 th:TH_LOAD_LU
	s_wait_loadcnt 0x0
	v_add_f64_e32 v[10:11], v[4:5], v[0:1]
	scratch_load_b64 v[0:1], off, off offset:1592 th:TH_LOAD_LU ; 8-byte Folded Reload
	s_wait_loadcnt 0x0
	v_add_f64_e32 v[12:13], v[6:7], v[0:1]
	s_clause 0x1
	scratch_load_b128 v[4:7], off, off offset:1976
	scratch_load_b64 v[0:1], off, off offset:1368 th:TH_LOAD_LU
	s_wait_loadcnt 0x0
	v_add_f64_e32 v[110:111], v[4:5], v[0:1]
	scratch_load_b64 v[0:1], off, off offset:1328 th:TH_LOAD_LU ; 8-byte Folded Reload
	s_wait_loadcnt 0x0
	v_add_f64_e32 v[112:113], v[6:7], v[0:1]
	s_clause 0x1
	scratch_load_b128 v[4:7], off, off offset:1960
	scratch_load_b64 v[0:1], off, off offset:1304 th:TH_LOAD_LU
	s_wait_loadcnt 0x1
	v_add_f64_e32 v[6:7], v[6:7], v[46:47]
	s_wait_loadcnt 0x0
	v_add_f64_e32 v[4:5], v[4:5], v[0:1]
	s_clause 0x2
	scratch_store_b128 off, v[4:7], off offset:576
	scratch_load_b128 v[4:7], off, off offset:2072
	scratch_load_b64 v[0:1], off, off offset:1728 th:TH_LOAD_LU
	s_wait_loadcnt 0x0
	v_add_f64_e32 v[60:61], v[4:5], v[0:1]
	scratch_load_b64 v[0:1], off, off offset:1384 th:TH_LOAD_LU ; 8-byte Folded Reload
	s_wait_loadcnt 0x0
	v_add_f64_e32 v[62:63], v[6:7], v[0:1]
	s_clause 0x1
	scratch_load_b128 v[6:9], off, off offset:2056
	scratch_load_b64 v[0:1], off, off offset:1896 th:TH_LOAD_LU
	s_wait_loadcnt 0x0
	v_add_f64_e32 v[4:5], v[6:7], v[0:1]
	scratch_load_b64 v[0:1], off, off offset:1864 th:TH_LOAD_LU ; 8-byte Folded Reload
	s_wait_loadcnt 0x0
	v_add_f64_e32 v[6:7], v[8:9], v[0:1]
	s_clause 0x2
	scratch_store_b128 off, v[4:7], off offset:416
	scratch_load_b128 v[76:79], off, off offset:2040
	scratch_load_b64 v[0:1], off, off offset:1376 th:TH_LOAD_LU
	s_wait_loadcnt 0x0
	s_wait_xcnt 0x2
	v_add_f64_e32 v[4:5], v[76:77], v[0:1]
	scratch_load_b64 v[0:1], off, off offset:1824 th:TH_LOAD_LU ; 8-byte Folded Reload
	s_wait_loadcnt 0x0
	v_add_f64_e32 v[6:7], v[78:79], v[0:1]
	s_clause 0x2
	scratch_store_b128 off, v[4:7], off offset:624
	scratch_load_b128 v[76:79], off, off offset:2024
	scratch_load_b64 v[0:1], off, off offset:1312 th:TH_LOAD_LU
	s_wait_loadcnt 0x1
	v_add_f64_e32 v[2:3], v[78:79], v[114:115]
	s_wait_loadcnt 0x0
	v_add_f64_e32 v[0:1], v[76:77], v[0:1]
	s_clause 0x2
	scratch_store_b128 off, v[0:3], off offset:560
	scratch_load_b128 v[0:3], off, off offset:2136
	scratch_load_b64 v[4:5], off, off offset:1736 th:TH_LOAD_LU
	s_wait_loadcnt 0x0
	v_add_f64_e32 v[86:87], v[0:1], v[4:5]
	scratch_load_b64 v[0:1], off, off offset:1424 th:TH_LOAD_LU ; 8-byte Folded Reload
	s_wait_loadcnt 0x0
	v_add_f64_e32 v[88:89], v[2:3], v[0:1]
	s_clause 0x1
	scratch_load_b128 v[0:3], off, off offset:2120
	scratch_load_b64 v[4:5], off, off offset:1904 th:TH_LOAD_LU
	s_wait_loadcnt 0x0
	v_add_f64_e32 v[0:1], v[0:1], v[4:5]
	scratch_load_b64 v[4:5], off, off offset:1872 th:TH_LOAD_LU ; 8-byte Folded Reload
	s_wait_loadcnt 0x0
	v_add_f64_e32 v[2:3], v[2:3], v[4:5]
	s_clause 0x2
	scratch_store_b128 off, v[0:3], off offset:752
	scratch_load_b128 v[0:3], off, off offset:2104
	scratch_load_b64 v[4:5], off, off offset:1568 th:TH_LOAD_LU
	s_wait_loadcnt 0x0
	v_add_f64_e32 v[0:1], v[0:1], v[4:5]
	scratch_load_b64 v[4:5], off, off offset:1344 th:TH_LOAD_LU ; 8-byte Folded Reload
	s_wait_loadcnt 0x0
	v_add_f64_e32 v[2:3], v[2:3], v[4:5]
	s_clause 0x1
	scratch_store_b128 off, v[0:3], off offset:608
	scratch_load_b128 v[0:3], off, off offset:2088
	s_wait_loadcnt 0x0
	v_add_f64_e32 v[0:1], v[0:1], v[102:103]
	v_add_f64_e32 v[2:3], v[2:3], v[48:49]
	s_clause 0x2
	scratch_store_b128 off, v[0:3], off offset:736
	scratch_load_b128 v[0:3], off, off offset:2200
	scratch_load_b64 v[4:5], off, off offset:1744 th:TH_LOAD_LU
	s_wait_loadcnt 0x0
	v_add_f64_e32 v[4:5], v[0:1], v[4:5]
	scratch_load_b64 v[0:1], off, off offset:1432 th:TH_LOAD_LU ; 8-byte Folded Reload
	s_wait_loadcnt 0x0
	v_add_f64_e32 v[6:7], v[2:3], v[0:1]
	s_clause 0x2
	scratch_store_b128 off, v[4:7], off offset:672
	scratch_load_b128 v[0:3], off, off offset:2184
	scratch_load_b64 v[4:5], off, off offset:1928 th:TH_LOAD_LU
	s_wait_loadcnt 0x0
	v_add_f64_e32 v[0:1], v[0:1], v[4:5]
	scratch_load_b64 v[4:5], off, off offset:1912 th:TH_LOAD_LU ; 8-byte Folded Reload
	s_wait_loadcnt 0x0
	;; [unrolled: 9-line block ×3, first 2 shown]
	v_add_f64_e32 v[2:3], v[2:3], v[4:5]
	s_clause 0x1
	scratch_store_b128 off, v[0:3], off offset:592
	scratch_load_b128 v[0:3], off, off offset:2152
	s_wait_loadcnt 0x0
	v_add_f64_e32 v[0:1], v[0:1], v[98:99]
	v_add_f64_e32 v[2:3], v[2:3], v[16:17]
	s_clause 0x2
	scratch_store_b128 off, v[0:3], off offset:448
	scratch_load_b128 v[0:3], off, off offset:2264
	scratch_load_b64 v[4:5], off, off offset:1752 th:TH_LOAD_LU
	s_wait_loadcnt 0x0
	v_add_f64_e32 v[82:83], v[0:1], v[4:5]
	scratch_load_b64 v[0:1], off, off offset:1888 th:TH_LOAD_LU ; 8-byte Folded Reload
	s_wait_loadcnt 0x0
	v_add_f64_e32 v[84:85], v[2:3], v[0:1]
	s_clause 0x1
	scratch_load_b128 v[0:3], off, off offset:2248
	scratch_load_b64 v[4:5], off, off offset:1408 th:TH_LOAD_LU
	s_wait_loadcnt 0x0
	v_add_f64_e32 v[0:1], v[0:1], v[4:5]
	scratch_load_b64 v[4:5], off, off offset:1392 th:TH_LOAD_LU ; 8-byte Folded Reload
	s_wait_loadcnt 0x0
	v_add_f64_e32 v[2:3], v[2:3], v[4:5]
	s_clause 0x2
	scratch_store_b128 off, v[0:3], off offset:720
	scratch_load_b128 v[0:3], off, off offset:2232
	scratch_load_b64 v[4:5], off, off offset:1840 th:TH_LOAD_LU
	s_wait_loadcnt 0x0
	v_add_f64_e32 v[50:51], v[0:1], v[4:5]
	scratch_load_b64 v[0:1], off, off offset:1336 th:TH_LOAD_LU ; 8-byte Folded Reload
	s_wait_loadcnt 0x0
	v_add_f64_e32 v[52:53], v[2:3], v[0:1]
	scratch_load_b128 v[0:3], off, off offset:2216 ; 16-byte Folded Reload
	s_wait_loadcnt 0x0
	v_add_f64_e32 v[42:43], v[0:1], v[44:45]
	v_add_f64_e32 v[44:45], v[2:3], v[64:65]
	s_clause 0x1
	scratch_load_b128 v[0:3], off, off offset:2328
	scratch_load_b64 v[4:5], off, off offset:1760 th:TH_LOAD_LU
	s_wait_loadcnt 0x0
	v_add_f64_e32 v[0:1], v[0:1], v[4:5]
	scratch_load_b64 v[4:5], off, off offset:1608 th:TH_LOAD_LU ; 8-byte Folded Reload
	s_wait_loadcnt 0x0
	v_add_f64_e32 v[2:3], v[2:3], v[4:5]
	s_clause 0x2
	scratch_store_b128 off, v[0:3], off offset:528
	scratch_load_b128 v[0:3], off, off offset:2312
	scratch_load_b64 v[4:5], off, off offset:1416 th:TH_LOAD_LU
	s_wait_loadcnt 0x0
	v_add_f64_e32 v[0:1], v[0:1], v[4:5]
	scratch_load_b64 v[4:5], off, off offset:1584 th:TH_LOAD_LU ; 8-byte Folded Reload
	s_wait_loadcnt 0x0
	v_add_f64_e32 v[2:3], v[2:3], v[4:5]
	s_clause 0x2
	scratch_store_b128 off, v[0:3], off offset:704
	scratch_load_b128 v[0:3], off, off offset:2296
	scratch_load_b64 v[4:5], off, off offset:1848 th:TH_LOAD_LU
	s_wait_loadcnt 0x0
	v_add_f64_e32 v[46:47], v[0:1], v[4:5]
	scratch_load_b64 v[0:1], off, off offset:1808 th:TH_LOAD_LU ; 8-byte Folded Reload
	s_wait_loadcnt 0x0
	v_add_f64_e32 v[48:49], v[2:3], v[0:1]
	scratch_load_b128 v[0:3], off, off offset:2280 ; 16-byte Folded Reload
	s_wait_loadcnt 0x0
	v_add_f64_e32 v[14:15], v[0:1], v[32:33]
	v_add_f64_e32 v[16:17], v[2:3], v[58:59]
	s_clause 0x1
	scratch_load_b128 v[0:3], off, off offset:2392
	scratch_load_b64 v[4:5], off, off offset:1664 th:TH_LOAD_LU
	s_wait_loadcnt 0x0
	v_add_f64_e32 v[4:5], v[0:1], v[4:5]
	scratch_load_b64 v[0:1], off, off offset:1672 th:TH_LOAD_LU ; 8-byte Folded Reload
	s_wait_loadcnt 0x0
	v_add_f64_e32 v[6:7], v[2:3], v[0:1]
	s_clause 0x1
	scratch_load_b128 v[0:3], off, off offset:2376
	scratch_load_b64 v[8:9], off, off offset:1712 th:TH_LOAD_LU
	s_wait_loadcnt 0x0
	v_add_f64_e32 v[76:77], v[0:1], v[8:9]
	scratch_load_b64 v[0:1], off, off offset:1920 th:TH_LOAD_LU ; 8-byte Folded Reload
	s_wait_loadcnt 0x0
	;; [unrolled: 8-line block ×3, first 2 shown]
	v_add_f64_e32 v[2:3], v[2:3], v[8:9]
	s_clause 0x1
	scratch_store_b128 off, v[0:3], off offset:400
	scratch_load_b128 v[0:3], off, off offset:2344
	s_wait_loadcnt 0x0
	v_add_f64_e32 v[0:1], v[0:1], v[24:25]
	v_add_f64_e32 v[2:3], v[2:3], v[68:69]
	s_clause 0x2
	scratch_store_b128 off, v[0:3], off offset:464
	scratch_load_b128 v[0:3], off, off offset:2456
	scratch_load_b64 v[8:9], off, off offset:1776 th:TH_LOAD_LU
	s_wait_loadcnt 0x0
	v_add_f64_e32 v[32:33], v[0:1], v[8:9]
	scratch_load_b64 v[0:1], off, off offset:1360 th:TH_LOAD_LU ; 8-byte Folded Reload
	s_wait_loadcnt 0x0
	v_add_f64_e32 v[34:35], v[2:3], v[0:1]
	s_clause 0x1
	scratch_load_b128 v[0:3], off, off offset:2440
	scratch_load_b64 v[8:9], off, off offset:1352 th:TH_LOAD_LU
	s_wait_loadcnt 0x0
	v_add_f64_e32 v[0:1], v[0:1], v[8:9]
	scratch_load_b64 v[8:9], off, off offset:1320 th:TH_LOAD_LU ; 8-byte Folded Reload
	s_wait_loadcnt 0x0
	v_add_f64_e32 v[2:3], v[2:3], v[8:9]
	s_clause 0x4
	scratch_store_b128 off, v[0:3], off offset:480
	scratch_load_b128 v[0:3], off, off offset:2424
	scratch_load_b64 v[8:9], off, off offset:1296 th:TH_LOAD_LU
	scratch_load_b64 v[22:23], off, off offset:1632 th:TH_LOAD_LU
	;; [unrolled: 1-line block ×3, first 2 shown]
	s_wait_loadcnt 0x2
	v_add_f64_e32 v[64:65], v[0:1], v[8:9]
	scratch_load_b64 v[0:1], off, off offset:1288 th:TH_LOAD_LU ; 8-byte Folded Reload
	s_wait_loadcnt 0x2
	v_add_nc_u64_e32 v[22:23], 8, v[22:23]
	s_wait_loadcnt 0x1
	v_add_nc_u64_e32 v[24:25], 8, v[24:25]
	s_wait_loadcnt 0x0
	v_add_f64_e32 v[66:67], v[2:3], v[0:1]
	scratch_load_b128 v[0:3], off, off offset:2408 ; 16-byte Folded Reload
	s_wait_loadcnt 0x0
	v_add_f64_e32 v[0:1], v[0:1], v[20:21]
	v_add_f64_e32 v[2:3], v[2:3], v[56:57]
	s_clause 0x6
	scratch_store_b128 off, v[0:3], off offset:544
	scratch_load_b64 v[2:3], off, off offset:1624 th:TH_LOAD_LU
	scratch_load_b128 v[18:21], off, off offset:16
	scratch_load_b128 v[26:29], off, off
	scratch_store_b128 off, v[14:17], off offset:496
	scratch_store_b128 off, v[42:45], off offset:432
	;; [unrolled: 1-line block ×3, first 2 shown]
	s_wait_loadcnt 0x2
	v_add_nc_u64_e32 v[2:3], 8, v[2:3]
	s_cbranch_scc1 .LBB0_35
; %bb.33:                               ;   in Loop: Header=BB0_21 Depth=1
	s_clause 0x1
	scratch_store_b128 off, v[82:85], off offset:688
	scratch_store_b128 off, v[32:35], off offset:768
	s_wait_loadcnt 0x0
	s_clause 0x5
	scratch_load_b128 v[26:29], off, off offset:112
	scratch_load_b128 v[92:95], off, off offset:1016
	;; [unrolled: 1-line block ×5, first 2 shown]
	scratch_load_b64 v[80:81], off, off offset:1504
	s_wait_xcnt 0x8
	v_mov_b64_e32 v[46:47], v[110:111]
	v_mov_b64_e32 v[48:49], v[112:113]
	scratch_load_b128 v[108:111], off, off offset:416 ; 16-byte Folded Reload
	v_mov_b64_e32 v[70:71], v[6:7]
	v_mov_b64_e32 v[68:69], v[4:5]
	s_branch .LBB0_21
.LBB0_34:                               ;   in Loop: Header=BB0_21 Depth=1
                                        ; implicit-def: $vgpr2_vgpr3
	s_branch .LBB0_23
.LBB0_35:
	s_clause 0x6
	scratch_load_b128 v[42:45], off, off offset:176
	scratch_load_b128 v[68:71], off, off offset:256
	scratch_load_b128 v[92:95], off, off offset:1016
	scratch_load_b128 v[96:99], off, off offset:1032
	scratch_load_b128 v[100:103], off, off offset:1048
	scratch_load_b128 v[104:107], off, off offset:1064
	scratch_load_b64 v[80:81], off, off offset:1504
	v_mov_b64_e32 v[54:55], v[52:53]
	v_mov_b64_e32 v[52:53], v[50:51]
	scratch_store_b128 off, v[4:7], off offset:784 ; 16-byte Folded Spill
	s_branch .LBB0_37
.LBB0_36:
	s_clause 0x3
	scratch_store_b128 off, v[108:111], off offset:416
	scratch_load_b128 v[32:35], off, off offset:768
	scratch_load_b128 v[82:85], off, off offset:688
	;; [unrolled: 1-line block ×3, first 2 shown]
	s_wait_xcnt 0x3
	v_mov_b64_e32 v[112:113], v[48:49]
	v_mov_b64_e32 v[54:55], v[52:53]
	;; [unrolled: 1-line block ×4, first 2 shown]
.LBB0_37:
	s_clause 0x1
	s_load_b64 s[4:5], s[0:1], 0x70
	s_load_b64 s[6:7], s[0:1], 0x60
	s_clause 0x2
	scratch_load_b128 v[72:75], off, off offset:240
	scratch_load_b64 v[2:3], off, off offset:2480
	scratch_load_b128 v[120:123], off, off offset:704
; %bb.38:
	scratch_load_b64 v[8:9], off, off offset:2472 th:TH_LOAD_LU ; 8-byte Folded Reload
	s_wait_loadcnt 0x2
	s_wait_kmcnt 0x0
	v_lshl_add_u64 v[0:1], v[2:3], 3, s[6:7]
	s_cmp_lt_i32 s3, 1
	s_wait_loadcnt 0x0
	global_store_b64 v[0:1], v[8:9], off
	s_cbranch_scc1 .LBB0_49
; %bb.39:
	s_wait_xcnt 0x0
	v_mul_lo_u32 v0, v2, s3
	s_load_b32 s6, s[0:1], 0x78
	s_wait_xcnt 0x0
	s_load_b64 s[0:1], s[0:1], 0x80
	s_cmp_lg_u32 s3, 0
	s_cselect_b32 vcc_lo, -1, 0
	s_delay_alu instid0(VALU_DEP_1) | instskip(NEXT) | instid1(VALU_DEP_1)
	v_ashrrev_i32_e32 v1, 31, v0
	v_lshlrev_b64_e32 v[0:1], 3, v[0:1]
	s_wait_kmcnt 0x0
	s_bitcmp1_b32 s6, 0
	s_delay_alu instid0(VALU_DEP_1)
	v_add_nc_u64_e32 v[2:3], s[4:5], v[0:1]
	v_add_nc_u64_e32 v[4:5], s[0:1], v[0:1]
	s_cselect_b32 s0, -1, 0
	s_cmp_lg_u32 s2, 0
	s_cselect_b32 s1, -1, 0
	s_lshl_b32 s2, s2, 1
	s_delay_alu instid0(VALU_DEP_2)
	v_dual_cndmask_b32 v7, 0, v3 :: v_dual_cndmask_b32 v6, 0, v2
	s_branch .LBB0_42
.LBB0_40:                               ;   in Loop: Header=BB0_42 Depth=1
	s_clause 0x8
	scratch_load_b128 v[20:23], off, off offset:968
	scratch_store_b64 off, v[16:17], off offset:896
	scratch_load_b128 v[16:19], off, off offset:288
	scratch_load_b128 v[64:67], off, off offset:272
	;; [unrolled: 1-line block ×3, first 2 shown]
	scratch_store_b128 off, v[120:123], off offset:704
	scratch_store_b128 off, v[32:35], off offset:768
	scratch_load_b128 v[122:125], off, off offset:192
	scratch_load_b128 v[28:31], off, off offset:112
	s_wait_loadcnt 0x9
	s_clause 0x2
	scratch_store_b128 off, v[106:109], off offset:448
	scratch_store_b128 off, v[102:105], off offset:432
	scratch_load_b128 v[102:105], off, off offset:304
	s_wait_loadcnt 0x8
	v_mov_b64_e32 v[24:25], v[42:43]
	v_mov_b64_e32 v[26:27], v[44:45]
	;; [unrolled: 1-line block ×8, first 2 shown]
	scratch_load_b128 v[92:95], off, off offset:528 th:TH_LOAD_LU ; 16-byte Folded Reload
	s_wait_loadcnt 0x7
	v_fma_f64 v[48:49], v[20:21], v[38:39], 0
	v_fma_f64 v[106:107], v[22:23], v[38:39], 0
	s_wait_loadcnt 0x6
	v_fma_f64 v[4:5], v[18:19], v[38:39], 0
	s_wait_loadcnt 0x5
	v_fma_f64 v[8:9], v[64:65], v[38:39], 0
	v_fma_f64 v[52:53], v[16:17], v[38:39], 0
	v_fma_f64 v[80:81], v[16:17], v[60:61], 0
	s_wait_loadcnt 0x4
	v_mov_b64_e32 v[56:57], v[2:3]
	s_wait_loadcnt 0x3
	v_fma_f64 v[74:75], v[124:125], v[38:39], 0
	v_fma_f64 v[98:99], v[20:21], v[60:61], 0
	;; [unrolled: 1-line block ×3, first 2 shown]
	v_mov_b64_e32 v[54:55], v[0:1]
	v_fma_f64 v[100:101], v[124:125], v[60:61], 0
	v_fma_f64 v[96:97], v[64:65], v[60:61], 0
	v_mov_b64_e32 v[88:89], v[66:67]
	v_mov_b64_e32 v[86:87], v[64:65]
	v_fma_f64 v[58:59], v[20:21], v[32:33], 0
	v_fma_f64 v[90:91], v[22:23], v[32:33], 0
	;; [unrolled: 1-line block ×5, first 2 shown]
	v_fmac_f64_e32 v[48:49], v[68:69], v[40:41]
	v_fmac_f64_e32 v[106:107], v[70:71], v[40:41]
	scratch_load_b128 v[68:71], off, off offset:672 th:TH_LOAD_LU ; 16-byte Folded Reload
	v_fmac_f64_e32 v[4:5], v[2:3], v[40:41]
	s_wait_loadcnt 0x3
	v_fmac_f64_e32 v[8:9], v[28:29], v[40:41]
	v_fmac_f64_e32 v[52:53], v[0:1], v[40:41]
	;; [unrolled: 1-line block ×3, first 2 shown]
	s_wait_loadcnt 0x2
	v_fmac_f64_e32 v[74:75], v[104:105], v[40:41]
	v_fma_f64 v[0:1], v[66:67], v[60:61], 0
	v_fmac_f64_e32 v[98:99], v[44:45], v[62:63]
	v_fmac_f64_e32 v[108:109], v[46:47], v[62:63]
	;; [unrolled: 1-line block ×9, first 2 shown]
	scratch_store_b64 off, v[4:5], off offset:872 ; 8-byte Folded Spill
	s_wait_xcnt 0x0
	v_fma_f64 v[4:5], v[122:123], v[38:39], 0
	v_mov_b64_e32 v[14:15], v[8:9]
	v_fma_f64 v[8:9], v[66:67], v[38:39], 0
	scratch_load_b128 v[36:39], off, off offset:848 th:TH_LOAD_LU ; 16-byte Folded Reload
	v_fmac_f64_e32 v[0:1], v[30:31], v[62:63]
	v_fma_f64 v[66:67], v[124:125], v[32:33], 0
	v_fmac_f64_e32 v[4:5], v[102:103], v[40:41]
	v_fmac_f64_e32 v[8:9], v[30:31], v[40:41]
	v_fma_f64 v[40:41], v[18:19], v[60:61], 0
	s_delay_alu instid0(VALU_DEP_4)
	v_fmac_f64_e32 v[66:67], v[104:105], v[34:35]
	scratch_store_b64 off, v[4:5], off offset:864 ; 8-byte Folded Spill
	s_wait_xcnt 0x0
	v_fma_f64 v[4:5], v[122:123], v[60:61], 0
	v_mov_b64_e32 v[72:73], v[8:9]
	v_fmac_f64_e32 v[40:41], v[2:3], v[62:63]
	v_fma_f64 v[2:3], v[86:87], v[32:33], 0
	s_delay_alu instid0(VALU_DEP_4)
	v_fmac_f64_e32 v[4:5], v[102:103], v[62:63]
	v_mov_b64_e32 v[62:63], v[22:23]
	v_mov_b64_e32 v[60:61], v[20:21]
	v_fma_f64 v[20:21], v[88:89], v[32:33], 0
	v_fmac_f64_e32 v[2:3], v[28:29], v[34:35]
	v_mov_b64_e32 v[84:85], v[4:5]
	s_delay_alu instid0(VALU_DEP_3)
	v_fmac_f64_e32 v[20:21], v[30:31], v[34:35]
	s_wait_loadcnt 0x1
	v_fma_f64 v[22:23], v[86:87], v[68:69], 0
	v_fma_f64 v[50:51], v[88:89], v[68:69], 0
	;; [unrolled: 1-line block ×3, first 2 shown]
	scratch_load_b64 v[18:19], off, off offset:872 th:TH_LOAD_LU ; 8-byte Folded Reload
	v_fma_f64 v[4:5], v[122:123], v[68:69], 0
	v_fma_f64 v[34:35], v[16:17], v[68:69], 0
	;; [unrolled: 1-line block ×4, first 2 shown]
	v_fmac_f64_e32 v[22:23], v[28:29], v[70:71]
	v_fmac_f64_e32 v[50:51], v[30:31], v[70:71]
	scratch_load_b128 v[28:31], off, off offset:208 ; 16-byte Folded Reload
	v_fmac_f64_e32 v[32:33], v[56:57], v[70:71]
	v_fmac_f64_e32 v[4:5], v[102:103], v[70:71]
	;; [unrolled: 1-line block ×5, first 2 shown]
	s_delay_alu instid0(VALU_DEP_4) | instskip(SKIP_1) | instid1(VALU_DEP_1)
	v_mov_b64_e32 v[126:127], v[4:5]
	v_fma_f64 v[4:5], v[124:125], v[68:69], 0
	v_fmac_f64_e32 v[4:5], v[104:105], v[70:71]
	s_delay_alu instid0(VALU_DEP_1)
	v_mov_b64_e32 v[46:47], v[4:5]
	s_wait_loadcnt 0x0
	v_mov_b64_e32 v[70:71], v[30:31]
	v_fmac_f64_e32 v[52:53], v[28:29], v[10:11]
	v_fmac_f64_e32 v[18:19], v[30:31], v[10:11]
	v_mov_b64_e32 v[68:69], v[28:29]
	scratch_load_b128 v[28:31], off, off offset:80 ; 16-byte Folded Reload
	v_fmac_f64_e32 v[40:41], v[70:71], v[76:77]
	v_fmac_f64_e32 v[42:43], v[70:71], v[24:25]
	;; [unrolled: 1-line block ×4, first 2 shown]
	s_wait_loadcnt 0x0
	v_mov_b64_e32 v[104:105], v[30:31]
	v_fmac_f64_e32 v[48:49], v[28:29], v[10:11]
	v_fmac_f64_e32 v[106:107], v[30:31], v[10:11]
	v_mov_b64_e32 v[102:103], v[28:29]
	s_clause 0x3
	scratch_load_b128 v[28:31], off, off offset:352
	scratch_load_b64 v[60:61], off, off offset:864 th:TH_LOAD_LU
	scratch_load_b128 v[86:89], off, off offset:160
	scratch_load_b128 v[4:7], off, off offset:144
	v_fmac_f64_e32 v[108:109], v[104:105], v[76:77]
	v_fmac_f64_e32 v[90:91], v[104:105], v[24:25]
	scratch_load_b128 v[54:57], off, off offset:48 ; 16-byte Folded Reload
	v_fmac_f64_e32 v[98:99], v[102:103], v[76:77]
	v_fmac_f64_e32 v[58:59], v[102:103], v[24:25]
	s_wait_loadcnt 0x4
	v_mov_b64_e32 v[124:125], v[30:31]
	s_wait_loadcnt 0x3
	v_fmac_f64_e32 v[60:61], v[28:29], v[10:11]
	v_fmac_f64_e32 v[74:75], v[30:31], v[10:11]
	v_mov_b64_e32 v[122:123], v[28:29]
	scratch_load_b128 v[28:31], off, off offset:336 ; 16-byte Folded Reload
	s_wait_loadcnt 0x3
	v_fmac_f64_e32 v[52:53], v[86:87], v[12:13]
	v_fmac_f64_e32 v[18:19], v[88:89], v[12:13]
	;; [unrolled: 1-line block ×10, first 2 shown]
	v_mov_b64_e32 v[62:63], v[52:53]
	v_mov_b64_e32 v[52:53], v[18:19]
	;; [unrolled: 1-line block ×3, first 2 shown]
	s_wait_loadcnt 0x1
	v_fmac_f64_e32 v[66:67], v[56:57], v[26:27]
	v_fmac_f64_e32 v[100:101], v[56:57], v[78:79]
	;; [unrolled: 1-line block ×6, first 2 shown]
	s_delay_alu instid0(VALU_DEP_2) | instskip(NEXT) | instid1(VALU_DEP_2)
	v_mov_b64_e32 v[44:45], v[74:75]
	v_mov_b64_e32 v[16:17], v[60:61]
	s_wait_loadcnt 0x0
	v_fmac_f64_e32 v[14:15], v[28:29], v[10:11]
	v_fmac_f64_e32 v[72:73], v[30:31], v[10:11]
	scratch_load_b128 v[10:13], off, off offset:64 ; 16-byte Folded Reload
	v_fmac_f64_e32 v[96:97], v[28:29], v[76:77]
	v_fmac_f64_e32 v[0:1], v[30:31], v[76:77]
	v_mov_b64_e32 v[76:77], v[70:71]
	v_fmac_f64_e32 v[2:3], v[28:29], v[24:25]
	v_fmac_f64_e32 v[20:21], v[30:31], v[24:25]
	v_mov_b64_e32 v[74:75], v[68:69]
	v_mov_b64_e32 v[68:69], v[102:103]
	;; [unrolled: 1-line block ×3, first 2 shown]
	v_fmac_f64_e32 v[14:15], v[4:5], v[18:19]
	v_fmac_f64_e32 v[72:73], v[6:7], v[18:19]
	;; [unrolled: 1-line block ×6, first 2 shown]
	s_wait_loadcnt 0x0
	v_mov_b64_e32 v[104:105], v[12:13]
	v_fmac_f64_e32 v[48:49], v[10:11], v[18:19]
	v_fmac_f64_e32 v[106:107], v[12:13], v[18:19]
	;; [unrolled: 1-line block ×6, first 2 shown]
	v_mov_b64_e32 v[26:27], v[46:47]
	v_mov_b64_e32 v[18:19], v[62:63]
	;; [unrolled: 1-line block ×3, first 2 shown]
	scratch_load_b128 v[10:13], off, off offset:656 th:TH_LOAD_LU ; 16-byte Folded Reload
	v_mov_b64_e32 v[8:9], v[106:107]
	v_mov_b64_e32 v[106:107], v[14:15]
	;; [unrolled: 1-line block ×4, first 2 shown]
	s_wait_loadcnt 0x0
	v_fmac_f64_e32 v[22:23], v[28:29], v[10:11]
	v_fmac_f64_e32 v[34:35], v[74:75], v[10:11]
	;; [unrolled: 1-line block ×16, first 2 shown]
	v_mov_b64_e32 v[6:7], v[52:53]
	v_mov_b64_e32 v[56:57], v[44:45]
	;; [unrolled: 1-line block ×3, first 2 shown]
	s_clause 0x8
	scratch_load_b128 v[20:23], off, off offset:688 th:TH_LOAD_LU
	scratch_load_b128 v[10:13], off, off offset:640
	scratch_load_b128 v[52:55], off, off offset:128
	;; [unrolled: 1-line block ×8, first 2 shown]
	s_wait_loadcnt 0x7
	v_fmac_f64_e32 v[6:7], v[12:13], v[36:37]
	v_mov_b64_e32 v[30:31], v[12:13]
	v_fmac_f64_e32 v[18:19], v[10:11], v[36:37]
	s_wait_loadcnt 0x4
	v_fmac_f64_e32 v[48:49], v[122:123], v[36:37]
	v_fmac_f64_e32 v[16:17], v[52:53], v[36:37]
	;; [unrolled: 1-line block ×3, first 2 shown]
	s_wait_loadcnt 0x2
	v_fmac_f64_e32 v[106:107], v[44:45], v[36:37]
	v_fmac_f64_e32 v[72:73], v[46:47], v[36:37]
	v_mov_b64_e32 v[28:29], v[10:11]
	v_mov_b64_e32 v[10:11], v[8:9]
	s_delay_alu instid0(VALU_DEP_1)
	v_fmac_f64_e32 v[10:11], v[124:125], v[36:37]
	v_fmac_f64_e32 v[6:7], v[104:105], v[38:39]
	;; [unrolled: 1-line block ×3, first 2 shown]
	s_wait_loadcnt 0x1
	v_fmac_f64_e32 v[48:49], v[74:75], v[38:39]
	v_fmac_f64_e32 v[106:107], v[60:61], v[38:39]
	;; [unrolled: 1-line block ×4, first 2 shown]
	v_mov_b64_e32 v[24:25], v[6:7]
	scratch_load_b128 v[6:9], off, off offset:624 th:TH_LOAD_LU ; 16-byte Folded Reload
	s_wait_loadcnt 0x1
	v_fmac_f64_e32 v[16:17], v[86:87], v[38:39]
	v_fmac_f64_e32 v[56:57], v[88:89], v[38:39]
	v_mov_b64_e32 v[38:39], v[30:31]
	v_mov_b64_e32 v[4:5], v[18:19]
	;; [unrolled: 1-line block ×6, first 2 shown]
	s_wait_loadcnt 0x0
	s_delay_alu instid0(VALU_DEP_2)
	v_fmac_f64_e32 v[80:81], v[36:37], v[6:7]
	v_fmac_f64_e32 v[40:41], v[38:39], v[6:7]
	;; [unrolled: 1-line block ×16, first 2 shown]
	scratch_load_b128 v[6:9], off, off offset:608 th:TH_LOAD_LU ; 16-byte Folded Reload
	v_mov_b64_e32 v[18:19], v[96:97]
	v_mov_b64_e32 v[72:73], v[14:15]
	;; [unrolled: 1-line block ×3, first 2 shown]
	s_wait_loadcnt 0x0
	v_fmac_f64_e32 v[2:3], v[44:45], v[6:7]
	v_fmac_f64_e32 v[0:1], v[46:47], v[6:7]
	;; [unrolled: 1-line block ×8, first 2 shown]
	v_mov_b64_e32 v[6:7], v[10:11]
	v_fmac_f64_e32 v[2:3], v[60:61], v[8:9]
	v_fmac_f64_e32 v[0:1], v[62:63], v[8:9]
	;; [unrolled: 1-line block ×8, first 2 shown]
	v_mov_b64_e32 v[96:97], v[2:3]
	v_mov_b64_e32 v[28:29], v[0:1]
	scratch_load_b128 v[0:3], off, off offset:592 th:TH_LOAD_LU ; 16-byte Folded Reload
	v_mov_b64_e32 v[16:17], v[66:67]
	s_wait_loadcnt 0x0
	v_fmac_f64_e32 v[26:27], v[54:55], v[0:1]
	v_fmac_f64_e32 v[34:35], v[36:37], v[0:1]
	;; [unrolled: 1-line block ×9, first 2 shown]
	scratch_store_b64 off, v[84:85], off offset:656 ; 8-byte Folded Spill
	v_fmac_f64_e32 v[34:35], v[102:103], v[2:3]
	v_fmac_f64_e32 v[32:33], v[104:105], v[2:3]
	;; [unrolled: 1-line block ×7, first 2 shown]
	s_clause 0x7
	scratch_store_b64 off, v[26:27], off offset:416
	scratch_load_b128 v[102:105], off, off offset:1136
	scratch_load_b128 v[0:3], off, off offset:576 th:TH_LOAD_LU
	scratch_load_b128 v[44:47], off, off offset:1120
	scratch_load_b128 v[84:87], off, off offset:1000
	;; [unrolled: 1-line block ×5, first 2 shown]
	s_wait_loadcnt 0x6
	v_fmac_f64_e32 v[42:43], v[104:105], v[114:115]
	s_wait_loadcnt 0x5
	v_fmac_f64_e32 v[24:25], v[104:105], v[0:1]
	v_fmac_f64_e32 v[14:15], v[102:103], v[0:1]
	s_wait_loadcnt 0x4
	v_fmac_f64_e32 v[12:13], v[44:45], v[0:1]
	;; [unrolled: 3-line block ×3, first 2 shown]
	v_fmac_f64_e32 v[56:57], v[124:125], v[0:1]
	v_fmac_f64_e32 v[90:91], v[46:47], v[114:115]
	;; [unrolled: 1-line block ×9, first 2 shown]
	s_delay_alu instid0(VALU_DEP_4)
	v_fmac_f64_e32 v[64:65], v[84:85], v[116:117]
	s_clause 0x3
	scratch_store_b64 off, v[42:43], off offset:952
	scratch_store_b64 off, v[24:25], off offset:872
	scratch_load_b128 v[24:27], off, off offset:984
	scratch_load_b64 v[42:43], off, off offset:416 th:TH_LOAD_LU
	s_wait_loadcnt 0x1
	v_fmac_f64_e32 v[12:13], v[24:25], v[2:3]
	v_fmac_f64_e32 v[6:7], v[26:27], v[2:3]
	scratch_store_b64 off, v[14:15], off offset:1168 ; 8-byte Folded Spill
	v_fmac_f64_e32 v[90:91], v[26:27], v[116:117]
	v_fmac_f64_e32 v[58:59], v[24:25], v[116:117]
	s_clause 0x1
	scratch_store_b64 off, v[12:13], off offset:1288
	scratch_load_b128 v[12:15], off, off
	v_fmac_f64_e32 v[106:107], v[8:9], v[0:1]
	v_fmac_f64_e32 v[48:49], v[10:11], v[0:1]
	s_clause 0x1
	scratch_store_b64 off, v[90:91], off offset:928
	scratch_load_b128 v[88:91], off, off offset:320
	v_fmac_f64_e32 v[96:97], v[8:9], v[114:115]
	v_fmac_f64_e32 v[106:107], v[68:69], v[2:3]
	;; [unrolled: 1-line block ×3, first 2 shown]
	s_delay_alu instid0(VALU_DEP_3)
	v_fmac_f64_e32 v[96:97], v[68:69], v[116:117]
	s_clause 0x3
	scratch_store_b64 off, v[106:107], off offset:752
	scratch_store_b64 off, v[48:49], off offset:624
	;; [unrolled: 1-line block ×3, first 2 shown]
	scratch_load_b64 v[48:49], off, off offset:656 th:TH_LOAD_LU
	s_wait_loadcnt 0x2
	v_fmac_f64_e32 v[30:31], v[12:13], v[2:3]
	v_fmac_f64_e32 v[56:57], v[14:15], v[2:3]
	scratch_load_b128 v[2:5], off, off offset:560 th:TH_LOAD_LU ; 16-byte Folded Reload
	v_mov_b64_e32 v[14:15], v[28:29]
	s_delay_alu instid0(VALU_DEP_1) | instskip(NEXT) | instid1(VALU_DEP_1)
	v_fmac_f64_e32 v[14:15], v[10:11], v[114:115]
	v_fmac_f64_e32 v[14:15], v[70:71], v[116:117]
	s_wait_loadcnt 0x0
	v_fmac_f64_e32 v[98:99], v[44:45], v[2:3]
	v_fmac_f64_e32 v[80:81], v[102:103], v[2:3]
	v_fmac_f64_e32 v[40:41], v[104:105], v[2:3]
	v_fmac_f64_e32 v[108:109], v[46:47], v[2:3]
	v_fmac_f64_e32 v[48:49], v[122:123], v[2:3]
	v_fmac_f64_e32 v[72:73], v[10:11], v[2:3]
	v_fmac_f64_e32 v[98:99], v[24:25], v[4:5]
	scratch_store_b64 off, v[6:7], off offset:1264 ; 8-byte Folded Spill
	s_wait_xcnt 0x0
	v_mov_b64_e32 v[6:7], v[100:101]
	v_mov_b64_e32 v[100:101], v[18:19]
	v_fmac_f64_e32 v[40:41], v[86:87], v[4:5]
	scratch_store_b64 off, v[56:57], off offset:1088 ; 8-byte Folded Spill
	v_fmac_f64_e32 v[72:73], v[70:71], v[4:5]
	v_fmac_f64_e32 v[80:81], v[84:85], v[4:5]
	;; [unrolled: 1-line block ×5, first 2 shown]
	s_clause 0x4
	scratch_load_b128 v[0:3], off, off
	scratch_store_b64 off, v[98:99], off offset:1280
	scratch_store_b64 off, v[40:41], off offset:1080
	;; [unrolled: 1-line block ×4, first 2 shown]
	v_fmac_f64_e32 v[100:101], v[68:69], v[4:5]
	s_wait_loadcnt 0x0
	v_fmac_f64_e32 v[48:49], v[0:1], v[4:5]
	s_clause 0x1
	scratch_load_b128 v[0:3], off, off
	scratch_store_b64 off, v[48:49], off offset:656
	s_wait_loadcnt 0x0
	v_fmac_f64_e32 v[6:7], v[2:3], v[4:5]
	scratch_load_b128 v[0:3], off, off      ; 16-byte Folded Reload
	s_wait_loadcnt 0x0
	v_fmac_f64_e32 v[82:83], v[0:1], v[116:117]
	s_clause 0x2
	scratch_load_b128 v[0:3], off, off
	scratch_store_b64 off, v[30:31], off offset:864
	scratch_store_b64 off, v[82:83], off offset:920
	s_wait_xcnt 0x0
	v_mov_b64_e32 v[82:83], v[78:79]
	v_mov_b64_e32 v[78:79], v[76:77]
	;; [unrolled: 1-line block ×3, first 2 shown]
	scratch_load_b128 v[72:75], off, off offset:112 ; 16-byte Folded Reload
	s_wait_loadcnt 0x1
	v_fmac_f64_e32 v[16:17], v[2:3], v[116:117]
	scratch_load_b128 v[2:5], off, off offset:448 th:TH_LOAD_LU ; 16-byte Folded Reload
	s_wait_loadcnt 0x0
	v_fmac_f64_e32 v[34:35], v[102:103], v[2:3]
	v_fmac_f64_e32 v[32:33], v[104:105], v[2:3]
	;; [unrolled: 1-line block ×8, first 2 shown]
	scratch_load_b128 v[0:3], off, off      ; 16-byte Folded Reload
	v_fmac_f64_e32 v[34:35], v[84:85], v[4:5]
	s_clause 0x1
	scratch_store_b64 off, v[64:65], off offset:1096
	scratch_store_b64 off, v[80:81], off offset:1112
	s_wait_xcnt 0x1
	v_mov_b64_e32 v[66:67], v[26:27]
	v_mov_b64_e32 v[64:65], v[24:25]
	v_fmac_f64_e32 v[32:33], v[86:87], v[4:5]
	v_fmac_f64_e32 v[82:83], v[68:69], v[4:5]
	;; [unrolled: 1-line block ×3, first 2 shown]
	scratch_load_b128 v[68:71], off, off offset:160 ; 16-byte Folded Reload
	v_fmac_f64_e32 v[112:113], v[66:67], v[4:5]
	v_fmac_f64_e32 v[110:111], v[64:65], v[4:5]
	s_clause 0x5
	scratch_store_b64 off, v[6:7], off offset:936
	scratch_load_b128 v[6:9], off, off offset:176
	scratch_store_b64 off, v[34:35], off offset:1104
	scratch_store_b64 off, v[32:33], off offset:960
	scratch_load_b128 v[30:33], off, off offset:304
	scratch_store_b64 off, v[82:83], off offset:608
	s_wait_xcnt 0x0
	v_mov_b64_e32 v[82:83], v[62:63]
	v_mov_b64_e32 v[80:81], v[60:61]
	s_clause 0x1
	scratch_store_b64 off, v[112:113], off offset:848
	scratch_store_b64 off, v[110:111], off offset:912
	s_wait_xcnt 0x1
	v_mov_b64_e32 v[114:115], v[46:47]
	v_mov_b64_e32 v[112:113], v[44:45]
	s_clause 0x3
	scratch_load_b128 v[44:47], off, off offset:64
	scratch_load_b128 v[108:111], off, off offset:272
	scratch_store_b64 off, v[50:51], off offset:448
	scratch_load_b128 v[48:51], off, off offset:352
	s_wait_loadcnt 0x6
	v_fmac_f64_e32 v[126:127], v[0:1], v[4:5]
	s_clause 0x3
	scratch_load_b128 v[0:3], off, off
	scratch_store_b64 off, v[100:101], off offset:672
	scratch_store_b64 off, v[16:17], off offset:904
	;; [unrolled: 1-line block ×3, first 2 shown]
	s_wait_loadcnt 0x2
	v_fma_f64 v[10:11], v[110:111], v[92:93], 0
	s_delay_alu instid0(VALU_DEP_1)
	v_fmac_f64_e32 v[10:11], v[74:75], v[94:95]
	s_wait_loadcnt 0x0
	v_fmac_f64_e32 v[42:43], v[2:3], v[4:5]
	s_clause 0x3
	scratch_load_b128 v[2:5], off, off offset:288
	scratch_store_b64 off, v[42:43], off offset:416
	scratch_store_b64 off, v[96:97], off offset:592
	;; [unrolled: 1-line block ×3, first 2 shown]
	s_wait_xcnt 0x0
	v_mov_b64_e32 v[14:15], v[88:89]
	v_mov_b64_e32 v[16:17], v[90:91]
	scratch_load_b128 v[40:43], off, off offset:208 ; 16-byte Folded Reload
	s_wait_loadcnt 0x1
	v_fma_f64 v[100:101], v[2:3], v[20:21], 0
	v_fma_f64 v[126:127], v[4:5], v[20:21], 0
	v_mov_b64_e32 v[58:59], v[4:5]
	v_mov_b64_e32 v[56:57], v[2:3]
	scratch_load_b128 v[2:5], off, off offset:192 ; 16-byte Folded Reload
	v_fma_f64 v[0:1], v[58:59], v[92:93], 0
	v_fma_f64 v[106:107], v[56:57], v[92:93], 0
	v_fmac_f64_e32 v[100:101], v[88:89], v[22:23]
	v_fmac_f64_e32 v[126:127], v[90:91], v[22:23]
	scratch_load_b128 v[88:91], off, off offset:968 ; 16-byte Folded Reload
	v_fmac_f64_e32 v[0:1], v[16:17], v[94:95]
	v_fmac_f64_e32 v[106:107], v[14:15], v[94:95]
	s_wait_loadcnt 0x1
	v_mov_b64_e32 v[62:63], v[4:5]
	v_mov_b64_e32 v[60:61], v[2:3]
	v_fma_f64 v[26:27], v[2:3], v[20:21], 0
	v_fma_f64 v[28:29], v[4:5], v[20:21], 0
	;; [unrolled: 1-line block ×4, first 2 shown]
	s_wait_loadcnt 0x0
	v_fma_f64 v[12:13], v[88:89], v[20:21], 0
	v_fma_f64 v[34:35], v[88:89], v[92:93], 0
	;; [unrolled: 1-line block ×3, first 2 shown]
	v_fmac_f64_e32 v[26:27], v[30:31], v[22:23]
	v_fmac_f64_e32 v[28:29], v[32:33], v[22:23]
	;; [unrolled: 1-line block ×6, first 2 shown]
	v_fma_f64 v[6:7], v[90:91], v[92:93], 0
	v_fmac_f64_e32 v[36:37], v[8:9], v[22:23]
	scratch_load_b128 v[20:23], off, off offset:400 th:TH_LOAD_LU ; 16-byte Folded Reload
	v_fmac_f64_e32 v[26:27], v[48:49], v[118:119]
	v_fmac_f64_e32 v[28:29], v[50:51], v[118:119]
	;; [unrolled: 1-line block ×3, first 2 shown]
	s_delay_alu instid0(VALU_DEP_1) | instskip(SKIP_1) | instid1(VALU_DEP_1)
	v_mov_b64_e32 v[8:9], v[6:7]
	v_fma_f64 v[6:7], v[60:61], v[92:93], 0
	v_fmac_f64_e32 v[6:7], v[30:31], v[94:95]
	s_delay_alu instid0(VALU_DEP_1) | instskip(SKIP_1) | instid1(VALU_DEP_1)
	v_mov_b64_e32 v[24:25], v[6:7]
	v_fma_f64 v[6:7], v[62:63], v[92:93], 0
	v_fmac_f64_e32 v[6:7], v[32:33], v[94:95]
	scratch_load_b128 v[30:33], off, off offset:80 ; 16-byte Folded Reload
	v_mov_b64_e32 v[14:15], v[6:7]
	v_fma_f64 v[6:7], v[108:109], v[92:93], 0
	s_delay_alu instid0(VALU_DEP_1)
	v_fmac_f64_e32 v[6:7], v[72:73], v[94:95]
	s_clause 0x1
	scratch_load_b128 v[72:75], off, off offset:336
	scratch_load_b128 v[92:95], off, off offset:48
	s_wait_loadcnt 0x2
	v_mov_b64_e32 v[16:17], v[30:31]
	v_fmac_f64_e32 v[12:13], v[30:31], v[118:119]
	v_fmac_f64_e32 v[36:37], v[32:33], v[118:119]
	v_mov_b64_e32 v[18:19], v[32:33]
	scratch_load_b128 v[30:33], off, off offset:144 ; 16-byte Folded Reload
	v_fmac_f64_e32 v[100:101], v[40:41], v[118:119]
	v_fmac_f64_e32 v[126:127], v[42:43], v[118:119]
	;; [unrolled: 1-line block ×4, first 2 shown]
	s_delay_alu instid0(VALU_DEP_4) | instskip(NEXT) | instid1(VALU_DEP_4)
	v_fmac_f64_e32 v[100:101], v[68:69], v[120:121]
	v_fmac_f64_e32 v[126:127], v[70:71], v[120:121]
	s_wait_loadcnt 0x2
	v_fmac_f64_e32 v[4:5], v[72:73], v[118:119]
	v_fmac_f64_e32 v[2:3], v[74:75], v[118:119]
	s_wait_loadcnt 0x1
	v_fmac_f64_e32 v[26:27], v[92:93], v[120:121]
	v_fmac_f64_e32 v[28:29], v[94:95], v[120:121]
	v_mov_b64_e32 v[38:39], v[12:13]
	s_wait_loadcnt 0x0
	v_mov_b64_e32 v[118:119], v[32:33]
	v_fmac_f64_e32 v[4:5], v[30:31], v[120:121]
	v_fmac_f64_e32 v[2:3], v[32:33], v[120:121]
	v_mov_b64_e32 v[116:117], v[30:31]
	scratch_load_b128 v[30:33], off, off offset:704 th:TH_LOAD_LU ; 16-byte Folded Reload
	v_mov_b64_e32 v[12:13], v[4:5]
	s_wait_loadcnt 0x0
	v_fmac_f64_e32 v[0:1], v[42:43], v[30:31]
	v_fmac_f64_e32 v[24:25], v[48:49], v[30:31]
	;; [unrolled: 1-line block ×11, first 2 shown]
	s_clause 0x4
	scratch_load_b128 v[70:73], off, off offset:640
	scratch_load_b128 v[96:99], off, off offset:832 th:TH_LOAD_LU
	scratch_load_b128 v[92:95], off, off offset:96
	scratch_load_b128 v[40:43], off, off offset:256
	;; [unrolled: 1-line block ×3, first 2 shown]
	v_fmac_f64_e32 v[10:11], v[118:119], v[32:33]
	scratch_load_b128 v[118:121], off, off offset:224 ; 16-byte Folded Reload
	v_fmac_f64_e32 v[106:107], v[68:69], v[32:33]
	v_fmac_f64_e32 v[34:35], v[44:45], v[32:33]
	;; [unrolled: 1-line block ×4, first 2 shown]
	scratch_load_b128 v[30:33], off, off offset:512 th:TH_LOAD_LU ; 16-byte Folded Reload
	v_mov_b64_e32 v[68:69], v[66:67]
	v_mov_b64_e32 v[66:67], v[64:65]
	;; [unrolled: 1-line block ×5, first 2 shown]
	s_wait_loadcnt 0x5
	v_fmac_f64_e32 v[100:101], v[70:71], v[96:97]
	v_fmac_f64_e32 v[126:127], v[72:73], v[96:97]
	s_wait_loadcnt 0x4
	v_fmac_f64_e32 v[38:39], v[92:93], v[96:97]
	v_fmac_f64_e32 v[36:37], v[94:95], v[96:97]
	;; [unrolled: 1-line block ×4, first 2 shown]
	s_wait_loadcnt 0x3
	v_fmac_f64_e32 v[12:13], v[40:41], v[96:97]
	v_fmac_f64_e32 v[2:3], v[42:43], v[96:97]
	s_wait_loadcnt 0x0
	v_fmac_f64_e32 v[106:107], v[70:71], v[30:31]
	v_fmac_f64_e32 v[0:1], v[72:73], v[30:31]
	;; [unrolled: 1-line block ×14, first 2 shown]
	v_mov_b64_e32 v[98:99], v[54:55]
	v_mov_b64_e32 v[96:97], v[52:53]
	;; [unrolled: 1-line block ×4, first 2 shown]
	v_fmac_f64_e32 v[106:107], v[118:119], v[32:33]
	v_fmac_f64_e32 v[0:1], v[120:121], v[32:33]
	;; [unrolled: 1-line block ×8, first 2 shown]
	v_mov_b64_e32 v[48:49], v[38:39]
	v_mov_b64_e32 v[6:7], v[26:27]
	s_delay_alu instid0(VALU_DEP_1)
	v_mov_b64_e32 v[38:39], v[6:7]
	v_mov_b64_e32 v[44:45], v[0:1]
	v_fmac_f64_e32 v[24:25], v[18:19], v[32:33]
	v_fmac_f64_e32 v[4:5], v[16:17], v[32:33]
	s_clause 0x1
	scratch_load_b128 v[30:33], off, off offset:432 th:TH_LOAD_LU
	scratch_load_b128 v[16:19], off, off offset:320
	v_mov_b64_e32 v[26:27], v[4:5]
	scratch_load_b128 v[4:7], off, off offset:16 ; 16-byte Folded Reload
	s_wait_loadcnt 0x2
	v_fmac_f64_e32 v[38:39], v[122:123], v[30:31]
	v_fmac_f64_e32 v[28:29], v[124:125], v[30:31]
	;; [unrolled: 1-line block ×6, first 2 shown]
	s_wait_loadcnt 0x0
	v_fmac_f64_e32 v[12:13], v[4:5], v[30:31]
	scratch_load_b128 v[4:7], off, off offset:16 ; 16-byte Folded Reload
	v_fmac_f64_e32 v[100:101], v[84:85], v[32:33]
	v_fmac_f64_e32 v[126:127], v[86:87], v[32:33]
	;; [unrolled: 1-line block ×4, first 2 shown]
	s_wait_loadcnt 0x0
	v_fmac_f64_e32 v[2:3], v[6:7], v[30:31]
	scratch_load_b128 v[4:7], off, off      ; 16-byte Folded Reload
	s_wait_loadcnt 0x0
	v_fmac_f64_e32 v[38:39], v[4:5], v[32:33]
	scratch_load_b128 v[4:7], off, off      ; 16-byte Folded Reload
	s_wait_loadcnt 0x0
	v_fmac_f64_e32 v[28:29], v[6:7], v[32:33]
	scratch_load_b128 v[4:7], off, off offset:384 ; 16-byte Folded Reload
	s_wait_loadcnt 0x0
	v_fmac_f64_e32 v[12:13], v[4:5], v[32:33]
	v_fmac_f64_e32 v[2:3], v[6:7], v[32:33]
	s_clause 0x1
	scratch_store_b64 off, v[38:39], off offset:1312
	scratch_store_b64 off, v[28:29], off offset:1272
	s_wait_xcnt 0x0
	v_mov_b64_e32 v[30:31], v[6:7]
	v_mov_b64_e32 v[28:29], v[4:5]
	s_clause 0x3
	scratch_load_b128 v[4:7], off, off offset:16
	scratch_store_b64 off, v[12:13], off offset:512
	scratch_store_b64 off, v[2:3], off offset:432
	scratch_load_b128 v[0:3], off, off offset:496 th:TH_LOAD_LU
	s_wait_loadcnt 0x0
	v_fmac_f64_e32 v[14:15], v[4:5], v[0:1]
	scratch_load_b128 v[4:7], off, off offset:16 ; 16-byte Folded Reload
	v_fmac_f64_e32 v[34:35], v[112:113], v[0:1]
	v_fmac_f64_e32 v[26:27], v[122:123], v[0:1]
	v_fmac_f64_e32 v[8:9], v[114:115], v[0:1]
	v_fmac_f64_e32 v[24:25], v[124:125], v[0:1]
	v_fmac_f64_e32 v[106:107], v[102:103], v[0:1]
	v_fmac_f64_e32 v[44:45], v[104:105], v[0:1]
	v_mov_b64_e32 v[104:105], v[30:31]
	v_mov_b64_e32 v[102:103], v[28:29]
	;; [unrolled: 1-line block ×4, first 2 shown]
	s_delay_alu instid0(VALU_DEP_3)
	v_fmac_f64_e32 v[14:15], v[102:103], v[2:3]
	v_fmac_f64_e32 v[34:35], v[66:67], v[2:3]
	scratch_store_b64 off, v[48:49], off offset:1320 ; 8-byte Folded Spill
	v_fmac_f64_e32 v[8:9], v[68:69], v[2:3]
	scratch_load_b128 v[66:69], off, off offset:176 ; 16-byte Folded Reload
	v_fmac_f64_e32 v[106:107], v[84:85], v[2:3]
	v_fmac_f64_e32 v[44:45], v[86:87], v[2:3]
	s_clause 0x1
	scratch_store_b64 off, v[34:35], off offset:1296
	scratch_load_b128 v[32:35], off, off offset:112
	s_wait_loadcnt 0x2
	v_fmac_f64_e32 v[10:11], v[6:7], v[0:1]
	scratch_load_b128 v[4:7], off, off      ; 16-byte Folded Reload
	v_fmac_f64_e32 v[10:11], v[104:105], v[2:3]
	s_clause 0x1
	scratch_store_b64 off, v[14:15], off offset:528
	scratch_store_b64 off, v[10:11], off offset:496
	s_wait_xcnt 0x0
	v_mov_b64_e32 v[10:11], v[56:57]
	v_mov_b64_e32 v[12:13], v[58:59]
	s_delay_alu instid0(VALU_DEP_1) | instskip(NEXT) | instid1(VALU_DEP_3)
	v_mov_b64_e32 v[30:31], v[12:13]
	v_mov_b64_e32 v[28:29], v[10:11]
	s_wait_loadcnt 0x0
	v_fmac_f64_e32 v[26:27], v[4:5], v[2:3]
	s_clause 0x1
	scratch_load_b128 v[4:7], off, off
	scratch_store_b64 off, v[36:37], off offset:1304
	s_wait_xcnt 0x0
	v_mov_b64_e32 v[38:39], v[34:35]
	v_mov_b64_e32 v[36:37], v[32:33]
	scratch_store_b64 off, v[26:27], off offset:1248 ; 8-byte Folded Spill
	s_wait_loadcnt 0x0
	v_fmac_f64_e32 v[24:25], v[6:7], v[2:3]
	s_clause 0x3
	scratch_load_b128 v[4:7], off, off offset:784 th:TH_LOAD_LU
	scratch_store_b64 off, v[8:9], off offset:832
	scratch_store_b64 off, v[24:25], off offset:720
	scratch_load_b128 v[24:27], off, off offset:304
	s_wait_loadcnt 0x1
	v_fma_f64 v[2:3], v[62:63], v[4:5], 0
	v_fma_f64 v[78:79], v[108:109], v[4:5], 0
	;; [unrolled: 1-line block ×7, first 2 shown]
	s_wait_loadcnt 0x0
	v_fmac_f64_e32 v[2:3], v[26:27], v[6:7]
	v_fmac_f64_e32 v[78:79], v[32:33], v[6:7]
	v_mov_b64_e32 v[8:9], v[24:25]
	v_fmac_f64_e32 v[14:15], v[24:25], v[6:7]
	v_mov_b64_e32 v[10:11], v[26:27]
	v_mov_b64_e32 v[24:25], v[108:109]
	;; [unrolled: 1-line block ×3, first 2 shown]
	v_fmac_f64_e32 v[56:57], v[16:17], v[6:7]
	v_fmac_f64_e32 v[52:53], v[18:19], v[6:7]
	;; [unrolled: 1-line block ×4, first 2 shown]
	v_mov_b64_e32 v[116:117], v[2:3]
	v_fma_f64 v[2:3], v[110:111], v[4:5], 0
	s_delay_alu instid0(VALU_DEP_1)
	v_fmac_f64_e32 v[2:3], v[34:35], v[6:7]
	scratch_load_b128 v[32:35], off, off offset:768 th:TH_LOAD_LU ; 16-byte Folded Reload
	s_wait_loadcnt 0x0
	v_fma_f64 v[54:55], v[30:31], v[32:33], 0
	v_fma_f64 v[60:61], v[60:61], v[32:33], 0
	;; [unrolled: 1-line block ×6, first 2 shown]
	v_fmac_f64_e32 v[54:55], v[18:19], v[34:35]
	v_fmac_f64_e32 v[60:61], v[8:9], v[34:35]
	v_fma_f64 v[8:9], v[24:25], v[32:33], 0
	v_fma_f64 v[18:19], v[26:27], v[32:33], 0
	v_fmac_f64_e32 v[58:59], v[16:17], v[34:35]
	v_fmac_f64_e32 v[6:7], v[66:67], v[34:35]
	;; [unrolled: 1-line block ×4, first 2 shown]
	v_mov_b64_e32 v[64:65], v[88:89]
	v_mov_b64_e32 v[66:67], v[90:91]
	v_fmac_f64_e32 v[8:9], v[36:37], v[34:35]
	v_fmac_f64_e32 v[18:19], v[38:39], v[34:35]
	s_clause 0x7
	scratch_load_b128 v[32:35], off, off offset:816 th:TH_LOAD_LU
	scratch_load_b128 v[10:13], off, off offset:208
	scratch_load_b128 v[24:27], off, off offset:336
	;; [unrolled: 1-line block ×7, first 2 shown]
	s_wait_loadcnt 0x6
	v_fmac_f64_e32 v[56:57], v[10:11], v[32:33]
	s_wait_loadcnt 0x5
	v_mov_b64_e32 v[110:111], v[26:27]
	v_fmac_f64_e32 v[78:79], v[24:25], v[32:33]
	v_fmac_f64_e32 v[2:3], v[26:27], v[32:33]
	v_mov_b64_e32 v[108:109], v[24:25]
	scratch_load_b128 v[24:27], off, off offset:48 ; 16-byte Folded Reload
	s_wait_loadcnt 0x4
	v_fmac_f64_e32 v[14:15], v[28:29], v[32:33]
	v_fmac_f64_e32 v[116:117], v[30:31], v[32:33]
	s_wait_loadcnt 0x2
	v_fmac_f64_e32 v[0:1], v[36:37], v[32:33]
	v_fmac_f64_e32 v[46:47], v[38:39], v[32:33]
	;; [unrolled: 1-line block ×4, first 2 shown]
	s_wait_loadcnt 0x1
	v_fmac_f64_e32 v[78:79], v[88:89], v[34:35]
	v_fmac_f64_e32 v[2:3], v[90:91], v[34:35]
	;; [unrolled: 1-line block ×17, first 2 shown]
	s_wait_loadcnt 0x0
	v_mov_b64_e32 v[86:87], v[26:27]
	v_fmac_f64_e32 v[14:15], v[24:25], v[34:35]
	v_fmac_f64_e32 v[116:117], v[26:27], v[34:35]
	v_mov_b64_e32 v[84:85], v[24:25]
	scratch_load_b128 v[24:27], off, off offset:480 th:TH_LOAD_LU ; 16-byte Folded Reload
	v_fmac_f64_e32 v[14:15], v[96:97], v[20:21]
	v_fmac_f64_e32 v[116:117], v[98:99], v[20:21]
	s_wait_loadcnt 0x0
	v_fmac_f64_e32 v[6:7], v[36:37], v[24:25]
	v_fmac_f64_e32 v[48:49], v[38:39], v[24:25]
	;; [unrolled: 1-line block ×10, first 2 shown]
	v_mov_b64_e32 v[40:41], v[74:75]
	v_mov_b64_e32 v[42:43], v[76:77]
	scratch_load_b128 v[74:77], off, off offset:368 ; 16-byte Folded Reload
	v_fmac_f64_e32 v[58:59], v[122:123], v[26:27]
	v_fmac_f64_e32 v[54:55], v[124:125], v[26:27]
	;; [unrolled: 1-line block ×6, first 2 shown]
	v_mov_b64_e32 v[88:89], v[72:73]
	v_mov_b64_e32 v[24:25], v[64:65]
	;; [unrolled: 1-line block ×4, first 2 shown]
	s_wait_loadcnt 0x0
	v_fmac_f64_e32 v[14:15], v[74:75], v[22:23]
	v_fmac_f64_e32 v[116:117], v[76:77], v[22:23]
	scratch_load_b128 v[20:23], off, off offset:800 th:TH_LOAD_LU ; 16-byte Folded Reload
	s_wait_loadcnt 0x0
	v_fmac_f64_e32 v[58:59], v[70:71], v[20:21]
	v_fmac_f64_e32 v[54:55], v[72:73], v[20:21]
	;; [unrolled: 1-line block ×16, first 2 shown]
	s_clause 0x6
	scratch_load_b128 v[20:23], off, off offset:464 th:TH_LOAD_LU
	scratch_load_b128 v[92:95], off, off offset:1136
	scratch_load_b128 v[96:99], off, off offset:1152
	;; [unrolled: 1-line block ×6, first 2 shown]
	v_mov_b64_e32 v[76:77], v[4:5]
	s_wait_loadcnt 0x5
	v_fmac_f64_e32 v[56:57], v[92:93], v[20:21]
	s_wait_loadcnt 0x4
	v_fmac_f64_e32 v[14:15], v[96:97], v[20:21]
	;; [unrolled: 2-line block ×3, first 2 shown]
	scratch_load_b128 v[108:111], off, off offset:16 ; 16-byte Folded Reload
	v_fmac_f64_e32 v[116:117], v[98:99], v[20:21]
	v_fmac_f64_e32 v[52:53], v[94:95], v[20:21]
	;; [unrolled: 1-line block ×3, first 2 shown]
	s_wait_loadcnt 0x0
	v_fmac_f64_e32 v[2:3], v[110:111], v[20:21]
	scratch_load_b128 v[108:111], off, off  ; 16-byte Folded Reload
	v_fmac_f64_e32 v[2:3], v[104:105], v[22:23]
	s_clause 0x2
	scratch_store_b64 off, v[78:79], off offset:480
	scratch_store_b64 off, v[2:3], off offset:400
	scratch_load_b128 v[2:5], off, off offset:544 th:TH_LOAD_LU
	s_wait_loadcnt 0x1
	v_fmac_f64_e32 v[14:15], v[108:109], v[22:23]
	scratch_load_b128 v[108:111], off, off  ; 16-byte Folded Reload
	s_wait_loadcnt 0x1
	v_fmac_f64_e32 v[60:61], v[96:97], v[2:3]
	v_fmac_f64_e32 v[58:59], v[92:93], v[2:3]
	;; [unrolled: 1-line block ×4, first 2 shown]
	s_wait_loadcnt 0x0
	v_fmac_f64_e32 v[116:117], v[110:111], v[22:23]
	scratch_load_b128 v[108:111], off, off offset:16 ; 16-byte Folded Reload
	s_wait_loadcnt 0x0
	v_fmac_f64_e32 v[8:9], v[108:109], v[2:3]
	scratch_load_b128 v[108:111], off, off offset:16 ; 16-byte Folded Reload
	v_fmac_f64_e32 v[8:9], v[102:103], v[4:5]
	s_wait_loadcnt 0x0
	v_fmac_f64_e32 v[18:19], v[110:111], v[2:3]
	scratch_load_b128 v[108:111], off, off  ; 16-byte Folded Reload
	v_fmac_f64_e32 v[58:59], v[118:119], v[4:5]
	v_fmac_f64_e32 v[54:55], v[120:121], v[4:5]
	;; [unrolled: 1-line block ×5, first 2 shown]
	s_clause 0x1
	scratch_store_b64 off, v[8:9], off offset:688
	scratch_store_b64 off, v[18:19], off offset:464
	s_wait_loadcnt 0x0
	v_fmac_f64_e32 v[60:61], v[108:109], v[4:5]
	scratch_load_b128 v[108:111], off, off  ; 16-byte Folded Reload
	v_fmac_f64_e32 v[0:1], v[122:123], v[20:21]
	v_fmac_f64_e32 v[48:49], v[124:125], v[2:3]
	;; [unrolled: 1-line block ×4, first 2 shown]
	s_delay_alu instid0(VALU_DEP_4) | instskip(NEXT) | instid1(VALU_DEP_4)
	v_fmac_f64_e32 v[0:1], v[112:113], v[22:23]
	v_fmac_f64_e32 v[48:49], v[114:115], v[4:5]
	scratch_store_b64 off, v[116:117], off offset:1336 ; 8-byte Folded Spill
	v_fmac_f64_e32 v[46:47], v[114:115], v[22:23]
	v_fmac_f64_e32 v[6:7], v[112:113], v[4:5]
	s_clause 0x5
	scratch_store_b64 off, v[0:1], off offset:1344
	scratch_store_b64 off, v[48:49], off offset:1328
	scratch_load_b128 v[40:43], off, off offset:288
	scratch_load_b64 v[0:1], off, off offset:1168 th:TH_LOAD_LU
	scratch_load_b128 v[112:115], off, off offset:192
	scratch_load_b128 v[80:83], off, off offset:272
	s_wait_loadcnt 0x4
	v_fmac_f64_e32 v[76:77], v[110:111], v[4:5]
	s_wait_loadcnt 0x2
	v_fma_f64 v[8:9], v[64:65], v[0:1], 0
	s_wait_loadcnt 0x1
	v_fma_f64 v[28:29], v[114:115], v[0:1], 0
	v_mov_b64_e32 v[116:117], v[114:115]
	v_fma_f64 v[18:19], v[66:67], v[0:1], 0
	v_fma_f64 v[20:21], v[112:113], v[0:1], 0
	v_mov_b64_e32 v[114:115], v[112:113]
	s_clause 0x4
	scratch_load_b128 v[64:67], off, off offset:320
	scratch_load_b64 v[4:5], off, off offset:1112 th:TH_LOAD_LU
	scratch_load_b128 v[110:113], off, off offset:176
	scratch_load_b128 v[102:105], off, off offset:112
	;; [unrolled: 1-line block ×3, first 2 shown]
	v_fma_f64 v[78:79], v[40:41], v[0:1], 0
	v_fma_f64 v[2:3], v[42:43], v[0:1], 0
	s_wait_loadcnt 0x5
	v_fma_f64 v[30:31], v[80:81], v[0:1], 0
	v_fma_f64 v[34:35], v[82:83], v[0:1], 0
	v_mov_b64_e32 v[84:85], v[82:83]
	v_mov_b64_e32 v[82:83], v[80:81]
	s_wait_loadcnt 0x3
	v_fmac_f64_e32 v[78:79], v[64:65], v[4:5]
	v_fmac_f64_e32 v[2:3], v[66:67], v[4:5]
	s_wait_loadcnt 0x2
	v_fmac_f64_e32 v[8:9], v[110:111], v[4:5]
	v_fmac_f64_e32 v[18:19], v[112:113], v[4:5]
	;; [unrolled: 3-line block ×3, first 2 shown]
	v_fmac_f64_e32 v[30:31], v[102:103], v[4:5]
	v_fmac_f64_e32 v[34:35], v[104:105], v[4:5]
	scratch_load_b64 v[4:5], off, off offset:872 th:TH_LOAD_LU ; 8-byte Folded Reload
	v_mov_b64_e32 v[10:11], v[68:69]
	v_mov_b64_e32 v[72:73], v[102:103]
	;; [unrolled: 1-line block ×6, first 2 shown]
	s_wait_loadcnt 0x0
	s_wait_xcnt 0xa
	v_fma_f64 v[48:49], v[40:41], v[4:5], 0
	v_fma_f64 v[70:71], v[42:43], v[4:5], 0
	v_fma_f64 v[102:103], v[24:25], v[4:5], 0
	v_fma_f64 v[104:105], v[26:27], v[4:5], 0
	v_fma_f64 v[108:109], v[114:115], v[4:5], 0
	v_fma_f64 v[114:115], v[116:117], v[4:5], 0
	v_fma_f64 v[116:117], v[82:83], v[4:5], 0
	v_fma_f64 v[40:41], v[84:85], v[4:5], 0
	scratch_load_b64 v[4:5], off, off offset:1080 th:TH_LOAD_LU ; 8-byte Folded Reload
	v_mov_b64_e32 v[42:43], v[34:35]
	s_wait_loadcnt 0x0
	v_fmac_f64_e32 v[108:109], v[10:11], v[4:5]
	v_fmac_f64_e32 v[114:115], v[12:13], v[4:5]
	v_mov_b64_e32 v[10:11], v[72:73]
	v_mov_b64_e32 v[12:13], v[74:75]
	v_fmac_f64_e32 v[48:49], v[64:65], v[4:5]
	v_mov_b64_e32 v[64:65], v[38:39]
	v_fmac_f64_e32 v[70:71], v[66:67], v[4:5]
	v_fmac_f64_e32 v[102:103], v[110:111], v[4:5]
	;; [unrolled: 1-line block ×5, first 2 shown]
	s_clause 0x1
	scratch_load_b128 v[66:69], off, off offset:208
	scratch_load_b64 v[4:5], off, off offset:1096 th:TH_LOAD_LU
	v_mov_b64_e32 v[62:63], v[36:37]
	scratch_load_b128 v[72:75], off, off offset:352 ; 16-byte Folded Reload
	v_mov_b64_e32 v[36:37], v[30:31]
	scratch_load_b128 v[28:31], off, off offset:336 ; 16-byte Folded Reload
	s_wait_loadcnt 0x2
	v_fmac_f64_e32 v[78:79], v[66:67], v[4:5]
	v_fmac_f64_e32 v[2:3], v[68:69], v[4:5]
	;; [unrolled: 1-line block ×4, first 2 shown]
	s_wait_loadcnt 0x1
	v_fmac_f64_e32 v[22:23], v[72:73], v[4:5]
	v_fmac_f64_e32 v[32:33], v[74:75], v[4:5]
	s_wait_loadcnt 0x0
	v_fmac_f64_e32 v[36:37], v[28:29], v[4:5]
	v_fmac_f64_e32 v[42:43], v[30:31], v[4:5]
	scratch_load_b64 v[4:5], off, off offset:952 th:TH_LOAD_LU ; 8-byte Folded Reload
	s_wait_loadcnt 0x0
	v_fmac_f64_e32 v[48:49], v[66:67], v[4:5]
	v_fmac_f64_e32 v[70:71], v[68:69], v[4:5]
	;; [unrolled: 1-line block ×8, first 2 shown]
	s_clause 0x2
	scratch_load_b128 v[28:31], off, off offset:160
	scratch_load_b64 v[4:5], off, off offset:1104 th:TH_LOAD_LU
	scratch_load_b128 v[72:75], off, off offset:64
	s_wait_loadcnt 0x1
	v_fmac_f64_e32 v[2:3], v[30:31], v[4:5]
	v_fmac_f64_e32 v[78:79], v[28:29], v[4:5]
	s_delay_alu instid0(VALU_DEP_2) | instskip(SKIP_4) | instid1(VALU_DEP_2)
	v_mov_b64_e32 v[64:65], v[2:3]
	scratch_load_b64 v[2:3], off, off offset:960 th:TH_LOAD_LU ; 8-byte Folded Reload
	s_wait_loadcnt 0x1
	v_fmac_f64_e32 v[18:19], v[74:75], v[4:5]
	v_fmac_f64_e32 v[8:9], v[72:73], v[4:5]
	v_mov_b64_e32 v[62:63], v[18:19]
	scratch_load_b128 v[16:19], off, off offset:48 ; 16-byte Folded Reload
	v_mov_b64_e32 v[38:39], v[8:9]
	s_wait_loadcnt 0x1
	v_fmac_f64_e32 v[48:49], v[28:29], v[2:3]
	v_fmac_f64_e32 v[70:71], v[30:31], v[2:3]
	scratch_load_b128 v[28:31], off, off offset:256 ; 16-byte Folded Reload
	v_fmac_f64_e32 v[102:103], v[72:73], v[2:3]
	v_fmac_f64_e32 v[104:105], v[74:75], v[2:3]
	s_wait_loadcnt 0x1
	v_fmac_f64_e32 v[32:33], v[18:19], v[4:5]
	v_fmac_f64_e32 v[22:23], v[16:17], v[4:5]
	;; [unrolled: 1-line block ×4, first 2 shown]
	scratch_load_b128 v[16:19], off, off offset:96 ; 16-byte Folded Reload
	v_mov_b64_e32 v[8:9], v[32:33]
	scratch_load_b128 v[32:35], off, off offset:144 ; 16-byte Folded Reload
	s_wait_loadcnt 0x0
	v_fmac_f64_e32 v[36:37], v[32:33], v[4:5]
	v_fmac_f64_e32 v[42:43], v[34:35], v[4:5]
	;; [unrolled: 1-line block ×4, first 2 shown]
	v_mov_b64_e32 v[2:3], v[86:87]
	v_mov_b64_e32 v[4:5], v[88:89]
	scratch_load_b128 v[88:91], off, off offset:128 ; 16-byte Folded Reload
	v_fmac_f64_e32 v[38:39], v[16:17], v[100:101]
	v_fmac_f64_e32 v[62:63], v[18:19], v[100:101]
	;; [unrolled: 1-line block ×4, first 2 shown]
	scratch_load_b128 v[16:19], off, off offset:368 ; 16-byte Folded Reload
	v_fmac_f64_e32 v[64:65], v[4:5], v[100:101]
	v_fmac_f64_e32 v[70:71], v[4:5], v[126:127]
	v_mov_b64_e32 v[4:5], v[44:45]
	scratch_load_b128 v[32:35], off, off offset:240 ; 16-byte Folded Reload
	v_fmac_f64_e32 v[78:79], v[2:3], v[100:101]
	v_fmac_f64_e32 v[48:49], v[2:3], v[126:127]
	scratch_load_b128 v[0:3], off, off offset:224 ; 16-byte Folded Reload
	v_fmac_f64_e32 v[36:37], v[28:29], v[100:101]
	v_fmac_f64_e32 v[42:43], v[30:31], v[100:101]
	;; [unrolled: 1-line block ×4, first 2 shown]
	scratch_load_b128 v[28:31], off, off offset:32 ; 16-byte Folded Reload
	s_wait_loadcnt 0x4
	v_fmac_f64_e32 v[22:23], v[88:89], v[100:101]
	v_fmac_f64_e32 v[8:9], v[90:91], v[100:101]
	;; [unrolled: 1-line block ×4, first 2 shown]
	s_wait_loadcnt 0x3
	s_delay_alu instid0(VALU_DEP_4) | instskip(NEXT) | instid1(VALU_DEP_4)
	v_fmac_f64_e32 v[22:23], v[16:17], v[106:107]
	v_fmac_f64_e32 v[8:9], v[18:19], v[106:107]
	s_delay_alu instid0(VALU_DEP_4) | instskip(NEXT) | instid1(VALU_DEP_4)
	v_fmac_f64_e32 v[114:115], v[18:19], v[4:5]
	v_fmac_f64_e32 v[108:109], v[16:17], v[4:5]
	s_delay_alu instid0(VALU_DEP_4)
	v_mov_b64_e32 v[18:19], v[22:23]
	scratch_load_b128 v[20:23], off, off offset:16 ; 16-byte Folded Reload
	s_wait_loadcnt 0x1
	v_fmac_f64_e32 v[36:37], v[28:29], v[106:107]
	v_fmac_f64_e32 v[42:43], v[30:31], v[106:107]
	;; [unrolled: 1-line block ×4, first 2 shown]
	s_wait_loadcnt 0x0
	s_delay_alu instid0(VALU_DEP_4)
	v_fmac_f64_e32 v[36:37], v[20:21], v[56:57]
	scratch_load_b128 v[20:23], off, off offset:16 ; 16-byte Folded Reload
	v_fmac_f64_e32 v[62:63], v[34:35], v[106:107]
	v_fmac_f64_e32 v[38:39], v[32:33], v[106:107]
	;; [unrolled: 1-line block ×4, first 2 shown]
	s_delay_alu instid0(VALU_DEP_4) | instskip(NEXT) | instid1(VALU_DEP_4)
	v_mov_b64_e32 v[28:29], v[62:63]
	v_fmac_f64_e32 v[38:39], v[122:123], v[56:57]
	s_delay_alu instid0(VALU_DEP_4) | instskip(NEXT) | instid1(VALU_DEP_4)
	v_fmac_f64_e32 v[102:103], v[122:123], v[52:53]
	v_fmac_f64_e32 v[104:105], v[124:125], v[52:53]
	s_delay_alu instid0(VALU_DEP_4)
	v_fmac_f64_e32 v[28:29], v[124:125], v[56:57]
	s_wait_loadcnt 0x0
	v_fmac_f64_e32 v[42:43], v[22:23], v[56:57]
	scratch_load_b128 v[20:23], off, off offset:16 ; 16-byte Folded Reload
	s_wait_loadcnt 0x0
	v_fmac_f64_e32 v[116:117], v[20:21], v[52:53]
	scratch_load_b128 v[20:23], off, off offset:16 ; 16-byte Folded Reload
	s_wait_loadcnt 0x0
	v_fmac_f64_e32 v[40:41], v[22:23], v[52:53]
	scratch_load_b128 v[20:23], off, off    ; 16-byte Folded Reload
	v_fmac_f64_e32 v[64:65], v[2:3], v[106:107]
	v_fmac_f64_e32 v[70:71], v[2:3], v[4:5]
	;; [unrolled: 1-line block ×4, first 2 shown]
	scratch_load_b128 v[0:3], off, off offset:984 ; 16-byte Folded Reload
	v_fmac_f64_e32 v[64:65], v[94:95], v[56:57]
	v_fmac_f64_e32 v[70:71], v[94:95], v[52:53]
	;; [unrolled: 1-line block ×4, first 2 shown]
	s_delay_alu instid0(VALU_DEP_4)
	v_mov_b64_e32 v[30:31], v[64:65]
	v_mov_b64_e32 v[62:63], v[96:97]
	;; [unrolled: 1-line block ×3, first 2 shown]
	v_fmac_f64_e32 v[70:71], v[120:121], v[54:55]
	v_fmac_f64_e32 v[78:79], v[118:119], v[58:59]
	;; [unrolled: 1-line block ×8, first 2 shown]
	scratch_store_b64 off, v[70:71], off offset:1176 ; 8-byte Folded Spill
	s_wait_loadcnt 0x1
	v_fmac_f64_e32 v[18:19], v[20:21], v[58:59]
	s_clause 0x4
	scratch_load_b128 v[20:23], off, off
	scratch_store_b64 off, v[30:31], off offset:1112
	scratch_store_b64 off, v[48:49], off offset:1184
	;; [unrolled: 1-line block ×3, first 2 shown]
	scratch_load_b128 v[16:19], off, off offset:384
	s_wait_loadcnt 0x1
	v_fmac_f64_e32 v[8:9], v[22:23], v[58:59]
	scratch_load_b128 v[20:23], off, off    ; 16-byte Folded Reload
	v_fmac_f64_e32 v[38:39], v[0:1], v[58:59]
	v_fmac_f64_e32 v[28:29], v[2:3], v[58:59]
	;; [unrolled: 1-line block ×4, first 2 shown]
	s_wait_loadcnt 0x1
	v_fmac_f64_e32 v[36:37], v[16:17], v[58:59]
	v_fmac_f64_e32 v[42:43], v[18:19], v[58:59]
	;; [unrolled: 1-line block ×4, first 2 shown]
	s_clause 0x7
	scratch_store_b64 off, v[38:39], off offset:1096
	scratch_store_b64 off, v[78:79], off offset:1168
	;; [unrolled: 1-line block ×8, first 2 shown]
	s_wait_xcnt 0x3
	v_mov_b64_e32 v[42:43], v[82:83]
	v_mov_b64_e32 v[44:45], v[84:85]
	s_wait_loadcnt 0x0
	v_fmac_f64_e32 v[108:109], v[20:21], v[54:55]
	scratch_load_b128 v[20:23], off, off    ; 16-byte Folded Reload
	s_wait_loadcnt 0x0
	v_fmac_f64_e32 v[114:115], v[22:23], v[54:55]
	s_clause 0x2
	scratch_store_b64 off, v[8:9], off offset:800
	scratch_store_b64 off, v[28:29], off offset:960
	;; [unrolled: 1-line block ×3, first 2 shown]
	s_wait_xcnt 0x1
	v_mov_b64_e32 v[30:31], v[26:27]
	v_mov_b64_e32 v[28:29], v[24:25]
	s_delay_alu instid0(VALU_DEP_2) | instskip(NEXT) | instid1(VALU_DEP_2)
	v_mov_b64_e32 v[124:125], v[30:31]
	v_mov_b64_e32 v[122:123], v[28:29]
	s_clause 0x5
	scratch_store_b64 off, v[114:115], off offset:816
	scratch_load_b128 v[72:75], off, off offset:288
	scratch_load_b64 v[0:1], off, off offset:1288 th:TH_LOAD_LU
	scratch_load_b128 v[78:81], off, off offset:192
	scratch_load_b128 v[50:53], off, off offset:320
	scratch_load_b64 v[8:9], off, off offset:1280 th:TH_LOAD_LU
	s_wait_loadcnt 0x3
	v_fma_f64 v[32:33], v[72:73], v[0:1], 0
	v_fma_f64 v[38:39], v[74:75], v[0:1], 0
	;; [unrolled: 1-line block ×4, first 2 shown]
	s_wait_loadcnt 0x2
	v_fma_f64 v[94:95], v[78:79], v[0:1], 0
	v_fma_f64 v[98:99], v[80:81], v[0:1], 0
	;; [unrolled: 1-line block ×4, first 2 shown]
	scratch_load_b128 v[0:3], off, off offset:304 ; 16-byte Folded Reload
	s_wait_loadcnt 0x1
	v_fmac_f64_e32 v[32:33], v[50:51], v[8:9]
	v_fmac_f64_e32 v[38:39], v[52:53], v[8:9]
	;; [unrolled: 1-line block ×4, first 2 shown]
	s_wait_loadcnt 0x0
	v_mov_b64_e32 v[22:23], v[2:3]
	v_fmac_f64_e32 v[94:95], v[0:1], v[8:9]
	v_fmac_f64_e32 v[98:99], v[2:3], v[8:9]
	v_mov_b64_e32 v[20:21], v[0:1]
	v_mov_b64_e32 v[0:1], v[10:11]
	;; [unrolled: 1-line block ×4, first 2 shown]
	s_delay_alu instid0(VALU_DEP_4) | instskip(NEXT) | instid1(VALU_DEP_4)
	v_mov_b64_e32 v[82:83], v[20:21]
	v_fmac_f64_e32 v[4:5], v[0:1], v[8:9]
	s_delay_alu instid0(VALU_DEP_4)
	v_mov_b64_e32 v[26:27], v[2:3]
	v_mov_b64_e32 v[24:25], v[0:1]
	scratch_load_b64 v[0:1], off, off offset:1264 th:TH_LOAD_LU ; 8-byte Folded Reload
	v_fmac_f64_e32 v[90:91], v[2:3], v[8:9]
	scratch_load_b64 v[8:9], off, off offset:944 th:TH_LOAD_LU ; 8-byte Folded Reload
	s_wait_xcnt 0x9
	v_mov_b64_e32 v[108:109], v[26:27]
	v_mov_b64_e32 v[106:107], v[24:25]
	s_delay_alu instid0(VALU_DEP_1) | instskip(NEXT) | instid1(VALU_DEP_3)
	v_mov_b64_e32 v[86:87], v[106:107]
	v_mov_b64_e32 v[88:89], v[108:109]
	;; [unrolled: 1-line block ×3, first 2 shown]
	s_wait_loadcnt 0x1
	v_fma_f64 v[92:93], v[72:73], v[0:1], 0
	v_fma_f64 v[116:117], v[74:75], v[0:1], 0
	s_wait_xcnt 0x8
	v_fma_f64 v[114:115], v[28:29], v[0:1], 0
	v_fma_f64 v[96:97], v[30:31], v[0:1], 0
	;; [unrolled: 1-line block ×6, first 2 shown]
	scratch_load_b64 v[0:1], off, off offset:1256 th:TH_LOAD_LU ; 8-byte Folded Reload
	s_wait_loadcnt 0x0
	v_fmac_f64_e32 v[92:93], v[50:51], v[0:1]
	v_fmac_f64_e32 v[116:117], v[52:53], v[0:1]
	;; [unrolled: 1-line block ×8, first 2 shown]
	scratch_load_b64 v[0:1], off, off offset:864 th:TH_LOAD_LU ; 8-byte Folded Reload
	s_wait_loadcnt 0x0
	v_fma_f64 v[54:55], v[72:73], v[0:1], 0
	v_fma_f64 v[16:17], v[74:75], v[0:1], 0
	v_fma_f64 v[36:37], v[28:29], v[0:1], 0
	v_fma_f64 v[34:35], v[30:31], v[0:1], 0
	v_fma_f64 v[30:31], v[78:79], v[0:1], 0
	v_fma_f64 v[28:29], v[80:81], v[0:1], 0
	v_fma_f64 v[26:27], v[42:43], v[0:1], 0
	v_fma_f64 v[24:25], v[44:45], v[0:1], 0
	scratch_load_b64 v[0:1], off, off offset:656 th:TH_LOAD_LU ; 8-byte Folded Reload
	s_wait_loadcnt 0x0
	v_fmac_f64_e32 v[54:55], v[50:51], v[0:1]
	v_fmac_f64_e32 v[16:17], v[52:53], v[0:1]
	;; [unrolled: 1-line block ×8, first 2 shown]
	scratch_load_b64 v[0:1], off, off offset:1088 th:TH_LOAD_LU ; 8-byte Folded Reload
	s_wait_loadcnt 0x0
	v_fma_f64 v[48:49], v[72:73], v[0:1], 0
	v_fma_f64 v[22:23], v[74:75], v[0:1], 0
	;; [unrolled: 1-line block ×8, first 2 shown]
	scratch_load_b64 v[0:1], off, off offset:936 th:TH_LOAD_LU ; 8-byte Folded Reload
	v_mov_b64_e32 v[124:125], v[112:113]
	v_mov_b64_e32 v[122:123], v[110:111]
	;; [unrolled: 1-line block ×6, first 2 shown]
	scratch_load_b128 v[62:65], off, off offset:336 ; 16-byte Folded Reload
	s_wait_loadcnt 0x1
	v_fmac_f64_e32 v[48:49], v[50:51], v[0:1]
	v_fmac_f64_e32 v[22:23], v[52:53], v[0:1]
	;; [unrolled: 1-line block ×8, first 2 shown]
	s_clause 0x1
	scratch_load_b128 v[50:53], off, off offset:80
	scratch_load_b128 v[0:3], off, off offset:352
	v_fmac_f64_e32 v[32:33], v[42:43], v[8:9]
	v_fmac_f64_e32 v[38:39], v[44:45], v[8:9]
	s_wait_loadcnt 0x2
	v_fmac_f64_e32 v[4:5], v[62:63], v[8:9]
	v_fmac_f64_e32 v[10:11], v[64:65], v[8:9]
	s_wait_loadcnt 0x1
	v_fmac_f64_e32 v[40:41], v[50:51], v[8:9]
	v_fmac_f64_e32 v[70:71], v[52:53], v[8:9]
	s_wait_loadcnt 0x0
	v_fmac_f64_e32 v[94:95], v[0:1], v[8:9]
	v_fmac_f64_e32 v[98:99], v[2:3], v[8:9]
	scratch_load_b64 v[8:9], off, off offset:928 th:TH_LOAD_LU ; 8-byte Folded Reload
	s_wait_loadcnt 0x0
	v_fmac_f64_e32 v[92:93], v[42:43], v[8:9]
	v_fmac_f64_e32 v[116:117], v[44:45], v[8:9]
	v_fmac_f64_e32 v[114:115], v[50:51], v[8:9]
	v_fmac_f64_e32 v[96:97], v[52:53], v[8:9]
	v_fmac_f64_e32 v[90:91], v[0:1], v[8:9]
	v_fmac_f64_e32 v[120:121], v[2:3], v[8:9]
	v_fmac_f64_e32 v[58:59], v[62:63], v[8:9]
	v_fmac_f64_e32 v[56:57], v[64:65], v[8:9]
	scratch_load_b64 v[8:9], off, off offset:920 th:TH_LOAD_LU ; 8-byte Folded Reload
	s_wait_loadcnt 0x0
	v_fmac_f64_e32 v[54:55], v[42:43], v[8:9]
	v_fmac_f64_e32 v[16:17], v[44:45], v[8:9]
	v_fmac_f64_e32 v[36:37], v[50:51], v[8:9]
	v_fmac_f64_e32 v[34:35], v[52:53], v[8:9]
	v_fmac_f64_e32 v[30:31], v[0:1], v[8:9]
	v_fmac_f64_e32 v[28:29], v[2:3], v[8:9]
	v_fmac_f64_e32 v[26:27], v[62:63], v[8:9]
	v_fmac_f64_e32 v[24:25], v[64:65], v[8:9]
	scratch_load_b64 v[8:9], off, off offset:904 th:TH_LOAD_LU ; 8-byte Folded Reload
	s_wait_loadcnt 0x0
	v_fmac_f64_e32 v[48:49], v[42:43], v[8:9]
	v_fmac_f64_e32 v[22:23], v[44:45], v[8:9]
	v_fmac_f64_e32 v[20:21], v[50:51], v[8:9]
	v_fmac_f64_e32 v[18:19], v[52:53], v[8:9]
	v_fmac_f64_e32 v[102:103], v[0:1], v[8:9]
	v_fmac_f64_e32 v[104:105], v[2:3], v[8:9]
	v_fmac_f64_e32 v[106:107], v[62:63], v[8:9]
	v_fmac_f64_e32 v[108:109], v[64:65], v[8:9]
	s_clause 0x4
	scratch_load_b128 v[0:3], off, off offset:160
	scratch_load_b64 v[8:9], off, off offset:912 th:TH_LOAD_LU
	scratch_load_b128 v[50:53], off, off offset:64
	scratch_load_b128 v[42:45], off, off offset:48
	scratch_load_b128 v[62:65], off, off offset:144
	s_wait_loadcnt 0x3
	v_fmac_f64_e32 v[32:33], v[0:1], v[8:9]
	v_fmac_f64_e32 v[38:39], v[2:3], v[8:9]
	s_wait_loadcnt 0x2
	v_fmac_f64_e32 v[40:41], v[50:51], v[8:9]
	v_fmac_f64_e32 v[70:71], v[52:53], v[8:9]
	s_wait_loadcnt 0x1
	v_fmac_f64_e32 v[94:95], v[42:43], v[8:9]
	v_fmac_f64_e32 v[98:99], v[44:45], v[8:9]
	s_wait_loadcnt 0x0
	v_fmac_f64_e32 v[4:5], v[62:63], v[8:9]
	v_fmac_f64_e32 v[10:11], v[64:65], v[8:9]
	scratch_load_b64 v[8:9], off, off offset:848 th:TH_LOAD_LU ; 8-byte Folded Reload
	s_wait_loadcnt 0x0
	v_fmac_f64_e32 v[92:93], v[0:1], v[8:9]
	v_fmac_f64_e32 v[116:117], v[2:3], v[8:9]
	v_fmac_f64_e32 v[114:115], v[50:51], v[8:9]
	v_fmac_f64_e32 v[96:97], v[52:53], v[8:9]
	v_fmac_f64_e32 v[90:91], v[42:43], v[8:9]
	v_fmac_f64_e32 v[120:121], v[44:45], v[8:9]
	v_fmac_f64_e32 v[58:59], v[62:63], v[8:9]
	v_fmac_f64_e32 v[56:57], v[64:65], v[8:9]
	scratch_load_b64 v[8:9], off, off offset:736 th:TH_LOAD_LU ; 8-byte Folded Reload
	s_wait_loadcnt 0x0
	v_fmac_f64_e32 v[54:55], v[0:1], v[8:9]
	v_fmac_f64_e32 v[16:17], v[2:3], v[8:9]
	v_fmac_f64_e32 v[36:37], v[50:51], v[8:9]
	v_fmac_f64_e32 v[34:35], v[52:53], v[8:9]
	v_fmac_f64_e32 v[30:31], v[42:43], v[8:9]
	v_fmac_f64_e32 v[28:29], v[44:45], v[8:9]
	v_fmac_f64_e32 v[26:27], v[62:63], v[8:9]
	v_fmac_f64_e32 v[24:25], v[64:65], v[8:9]
	scratch_load_b64 v[8:9], off, off offset:416 th:TH_LOAD_LU ; 8-byte Folded Reload
	s_wait_loadcnt 0x0
	v_fmac_f64_e32 v[48:49], v[0:1], v[8:9]
	v_fmac_f64_e32 v[22:23], v[2:3], v[8:9]
	v_fmac_f64_e32 v[20:21], v[50:51], v[8:9]
	v_fmac_f64_e32 v[18:19], v[52:53], v[8:9]
	v_fmac_f64_e32 v[102:103], v[42:43], v[8:9]
	v_fmac_f64_e32 v[104:105], v[44:45], v[8:9]
	v_fmac_f64_e32 v[106:107], v[62:63], v[8:9]
	v_fmac_f64_e32 v[108:109], v[64:65], v[8:9]
	s_clause 0x4
	scratch_load_b128 v[42:45], off, off offset:640
	scratch_load_b64 v[8:9], off, off offset:1320 th:TH_LOAD_LU
	scratch_load_b128 v[50:53], off, off offset:96
	scratch_load_b128 v[0:3], off, off offset:128
	scratch_load_b128 v[86:89], off, off offset:256
	s_wait_loadcnt 0x3
	;; [unrolled: 48-line block ×3, first 2 shown]
	v_fmac_f64_e32 v[32:33], v[42:43], v[8:9]
	v_fmac_f64_e32 v[38:39], v[44:45], v[8:9]
	s_wait_loadcnt 0x2
	v_fmac_f64_e32 v[40:41], v[50:51], v[8:9]
	v_fmac_f64_e32 v[70:71], v[52:53], v[8:9]
	s_wait_loadcnt 0x0
	v_fmac_f64_e32 v[94:95], v[0:1], v[8:9]
	v_fmac_f64_e32 v[98:99], v[2:3], v[8:9]
	;; [unrolled: 1-line block ×4, first 2 shown]
	scratch_load_b64 v[8:9], off, off offset:832 th:TH_LOAD_LU ; 8-byte Folded Reload
	v_mov_b64_e32 v[12:13], v[10:11]
	s_wait_loadcnt 0x0
	v_fmac_f64_e32 v[92:93], v[42:43], v[8:9]
	v_fmac_f64_e32 v[116:117], v[44:45], v[8:9]
	;; [unrolled: 1-line block ×8, first 2 shown]
	scratch_load_b64 v[8:9], off, off offset:1248 th:TH_LOAD_LU ; 8-byte Folded Reload
	v_fmac_f64_e32 v[90:91], v[110:111], v[46:47]
	v_fmac_f64_e32 v[120:121], v[112:113], v[46:47]
	s_wait_loadcnt 0x0
	v_fmac_f64_e32 v[54:55], v[42:43], v[8:9]
	v_fmac_f64_e32 v[16:17], v[44:45], v[8:9]
	;; [unrolled: 1-line block ×8, first 2 shown]
	scratch_load_b64 v[8:9], off, off offset:720 th:TH_LOAD_LU ; 8-byte Folded Reload
	v_fmac_f64_e32 v[30:31], v[110:111], v[14:15]
	v_fmac_f64_e32 v[28:29], v[112:113], v[14:15]
	s_wait_loadcnt 0x0
	v_fmac_f64_e32 v[104:105], v[2:3], v[8:9]
	s_clause 0x2
	scratch_load_b128 v[122:125], off, off offset:1136
	scratch_load_b64 v[2:3], off, off offset:1344 th:TH_LOAD_LU
	scratch_load_b128 v[82:85], off, off offset:1120
	v_fmac_f64_e32 v[108:109], v[64:65], v[8:9]
	scratch_load_b128 v[64:67], off, off offset:16 ; 16-byte Folded Reload
	v_fmac_f64_e32 v[48:49], v[42:43], v[8:9]
	v_fmac_f64_e32 v[22:23], v[44:45], v[8:9]
	;; [unrolled: 1-line block ×6, first 2 shown]
	s_clause 0x2
	scratch_load_b128 v[78:81], off, off offset:1000
	scratch_load_b128 v[50:53], off, off offset:272
	;; [unrolled: 1-line block ×3, first 2 shown]
	s_wait_loadcnt 0x6
	v_fmac_f64_e32 v[92:93], v[122:123], v[46:47]
	s_wait_loadcnt 0x5
	v_fmac_f64_e32 v[38:39], v[124:125], v[2:3]
	;; [unrolled: 2-line block ×3, first 2 shown]
	v_fmac_f64_e32 v[32:33], v[122:123], v[2:3]
	v_fmac_f64_e32 v[70:71], v[84:85], v[2:3]
	v_fmac_f64_e32 v[94:95], v[110:111], v[2:3]
	v_fmac_f64_e32 v[98:99], v[112:113], v[2:3]
	v_fmac_f64_e32 v[116:117], v[124:125], v[46:47]
	v_fmac_f64_e32 v[114:115], v[82:83], v[46:47]
	v_fmac_f64_e32 v[96:97], v[84:85], v[46:47]
	v_fmac_f64_e32 v[36:37], v[82:83], v[14:15]
	v_fmac_f64_e32 v[34:35], v[84:85], v[14:15]
	v_fmac_f64_e32 v[54:55], v[122:123], v[14:15]
	v_fmac_f64_e32 v[16:17], v[124:125], v[14:15]
	v_mov_b64_e32 v[0:1], v[38:39]
	v_mov_b64_e32 v[8:9], v[40:41]
	scratch_load_b128 v[38:41], off, off offset:16 ; 16-byte Folded Reload
	s_wait_loadcnt 0x4
	v_fmac_f64_e32 v[4:5], v[64:65], v[2:3]
	scratch_load_b128 v[64:67], off, off offset:16 ; 16-byte Folded Reload
	s_wait_loadcnt 0x4
	v_fmac_f64_e32 v[32:33], v[78:79], v[6:7]
	v_fmac_f64_e32 v[0:1], v[80:81], v[6:7]
	;; [unrolled: 1-line block ×4, first 2 shown]
	s_wait_loadcnt 0x0
	v_fmac_f64_e32 v[12:13], v[66:67], v[2:3]
	s_clause 0x1
	scratch_load_b64 v[2:3], off, off offset:1336 th:TH_LOAD_LU
	scratch_load_b128 v[64:67], off, off offset:16
	s_wait_loadcnt 0x1
	v_fmac_f64_e32 v[106:107], v[38:39], v[2:3]
	scratch_load_b128 v[38:41], off, off offset:16 ; 16-byte Folded Reload
	v_fmac_f64_e32 v[48:49], v[122:123], v[2:3]
	v_fmac_f64_e32 v[22:23], v[124:125], v[2:3]
	;; [unrolled: 1-line block ×6, first 2 shown]
	s_wait_loadcnt 0x0
	v_fmac_f64_e32 v[108:109], v[40:41], v[2:3]
	scratch_load_b128 v[38:41], off, off    ; 16-byte Folded Reload
	v_fmac_f64_e32 v[58:59], v[64:65], v[46:47]
	scratch_load_b128 v[64:67], off, off offset:16 ; 16-byte Folded Reload
	s_wait_loadcnt 0x1
	v_fmac_f64_e32 v[94:95], v[38:39], v[6:7]
	s_clause 0x2
	scratch_load_b128 v[38:41], off, off
	scratch_store_b64 off, v[0:1], off offset:416
	scratch_load_b128 v[0:3], off, off offset:984
	s_wait_loadcnt 0x2
	v_fmac_f64_e32 v[56:57], v[66:67], v[46:47]
	scratch_load_b128 v[64:67], off, off offset:16 ; 16-byte Folded Reload
	s_wait_loadcnt 0x2
	v_fmac_f64_e32 v[98:99], v[40:41], v[6:7]
	scratch_load_b128 v[38:41], off, off offset:384 ; 16-byte Folded Reload
	s_wait_loadcnt 0x2
	v_fmac_f64_e32 v[8:9], v[0:1], v[6:7]
	v_fmac_f64_e32 v[70:71], v[2:3], v[6:7]
	;; [unrolled: 1-line block ×4, first 2 shown]
	s_clause 0x1
	scratch_store_b64 off, v[8:9], off offset:736
	scratch_store_b64 off, v[70:71], off offset:656
	s_wait_loadcnt 0x0
	v_fmac_f64_e32 v[4:5], v[38:39], v[6:7]
	v_fmac_f64_e32 v[12:13], v[40:41], v[6:7]
	s_clause 0x2
	scratch_store_b64 off, v[94:95], off offset:720
	scratch_store_b64 off, v[32:33], off offset:904
	;; [unrolled: 1-line block ×3, first 2 shown]
	v_mov_b64_e32 v[46:47], v[12:13]
	s_clause 0x1
	scratch_load_b64 v[4:5], off, off offset:1328 th:TH_LOAD_LU
	scratch_load_b128 v[10:13], off, off
	v_fmac_f64_e32 v[26:27], v[64:65], v[14:15]
	scratch_load_b128 v[64:67], off, off offset:16 ; 16-byte Folded Reload
	v_fmac_f64_e32 v[26:27], v[38:39], v[60:61]
	s_wait_loadcnt 0x2
	v_fmac_f64_e32 v[92:93], v[78:79], v[4:5]
	s_wait_loadcnt 0x1
	v_fmac_f64_e32 v[90:91], v[10:11], v[4:5]
	scratch_load_b128 v[10:13], off, off    ; 16-byte Folded Reload
	s_wait_loadcnt 0x0
	scratch_load_b128 v[8:11], off, off     ; 16-byte Folded Reload
	v_fmac_f64_e32 v[116:117], v[80:81], v[4:5]
	v_fmac_f64_e32 v[114:115], v[0:1], v[4:5]
	;; [unrolled: 1-line block ×5, first 2 shown]
	scratch_store_b64 off, v[98:99], off offset:848 ; 8-byte Folded Spill
	v_fmac_f64_e32 v[24:25], v[66:67], v[14:15]
	scratch_store_b64 off, v[92:93], off offset:912 ; 8-byte Folded Spill
	s_wait_xcnt 0x0
	v_mov_b64_e32 v[94:95], v[44:45]
	v_mov_b64_e32 v[92:93], v[42:43]
	scratch_store_b64 off, v[116:117], off offset:864 ; 8-byte Folded Spill
	v_fmac_f64_e32 v[24:25], v[40:41], v[60:61]
	v_fmac_f64_e32 v[120:121], v[12:13], v[4:5]
	v_mov_b64_e32 v[4:5], v[76:77]
	s_wait_loadcnt 0x0
	v_fmac_f64_e32 v[30:31], v[8:9], v[60:61]
	scratch_load_b128 v[8:11], off, off     ; 16-byte Folded Reload
	v_fmac_f64_e32 v[20:21], v[0:1], v[4:5]
	scratch_load_b64 v[0:1], off, off offset:752 th:TH_LOAD_LU ; 8-byte Folded Reload
	s_wait_loadcnt 0x1
	scratch_load_b128 v[6:9], off, off      ; 16-byte Folded Reload
	v_fmac_f64_e32 v[48:49], v[78:79], v[4:5]
	v_fmac_f64_e32 v[22:23], v[80:81], v[4:5]
	;; [unrolled: 1-line block ×6, first 2 shown]
	v_mov_b64_e32 v[62:63], v[40:41]
	v_mov_b64_e32 v[60:61], v[38:39]
	;; [unrolled: 1-line block ×4, first 2 shown]
	s_wait_loadcnt 0x1
	v_fma_f64 v[2:3], v[72:73], v[0:1], 0
	s_wait_loadcnt 0x0
	v_fmac_f64_e32 v[102:103], v[6:7], v[4:5]
	scratch_load_b128 v[6:9], off, off      ; 16-byte Folded Reload
	v_fma_f64 v[14:15], v[42:43], v[0:1], 0
	v_fma_f64 v[32:33], v[44:45], v[0:1], 0
	;; [unrolled: 1-line block ×4, first 2 shown]
	s_wait_loadcnt 0x0
	v_fmac_f64_e32 v[104:105], v[8:9], v[4:5]
	scratch_load_b128 v[6:9], off, off offset:192 ; 16-byte Folded Reload
	v_fma_f64 v[4:5], v[74:75], v[0:1], 0
	s_wait_loadcnt 0x0
	v_mov_b64_e32 v[100:101], v[8:9]
	v_fma_f64 v[64:65], v[6:7], v[0:1], 0
	v_fma_f64 v[66:67], v[8:9], v[0:1], 0
	v_mov_b64_e32 v[98:99], v[6:7]
	s_clause 0x4
	scratch_load_b64 v[0:1], off, off offset:672 th:TH_LOAD_LU
	scratch_load_b128 v[42:45], off, off offset:320
	scratch_load_b128 v[116:119], off, off offset:176
	;; [unrolled: 1-line block ×4, first 2 shown]
	s_wait_loadcnt 0x3
	v_fmac_f64_e32 v[2:3], v[42:43], v[0:1]
	v_fmac_f64_e32 v[4:5], v[44:45], v[0:1]
	s_wait_loadcnt 0x1
	v_mov_b64_e32 v[40:41], v[8:9]
	v_fmac_f64_e32 v[70:71], v[8:9], v[0:1]
	v_mov_b64_e32 v[38:39], v[6:7]
	scratch_load_b64 v[8:9], off, off offset:624 th:TH_LOAD_LU ; 8-byte Folded Reload
	v_fmac_f64_e32 v[68:69], v[6:7], v[0:1]
	s_wait_loadcnt 0x1
	v_fmac_f64_e32 v[64:65], v[50:51], v[0:1]
	v_fmac_f64_e32 v[66:67], v[52:53], v[0:1]
	;; [unrolled: 1-line block ×4, first 2 shown]
	s_wait_loadcnt 0x0
	v_fma_f64 v[6:7], v[72:73], v[8:9], 0
	v_fma_f64 v[72:73], v[74:75], v[8:9], 0
	;; [unrolled: 1-line block ×8, first 2 shown]
	s_clause 0x1
	scratch_load_b128 v[8:11], off, off offset:336
	scratch_load_b64 v[12:13], off, off offset:576 th:TH_LOAD_LU
	s_wait_loadcnt 0x0
	v_fmac_f64_e32 v[6:7], v[42:43], v[12:13]
	v_fmac_f64_e32 v[72:73], v[44:45], v[12:13]
	;; [unrolled: 1-line block ×8, first 2 shown]
	s_clause 0x3
	scratch_load_b64 v[12:13], off, off offset:592 th:TH_LOAD_LU
	scratch_load_b128 v[50:53], off, off offset:208
	scratch_load_b128 v[38:41], off, off offset:80
	;; [unrolled: 1-line block ×3, first 2 shown]
	s_wait_loadcnt 0x3
	v_fmac_f64_e32 v[68:69], v[8:9], v[12:13]
	s_wait_loadcnt 0x2
	v_fmac_f64_e32 v[2:3], v[50:51], v[12:13]
	v_fmac_f64_e32 v[4:5], v[52:53], v[12:13]
	s_wait_loadcnt 0x1
	v_fmac_f64_e32 v[14:15], v[38:39], v[12:13]
	;; [unrolled: 3-line block ×3, first 2 shown]
	v_fmac_f64_e32 v[66:67], v[44:45], v[12:13]
	v_fmac_f64_e32 v[70:71], v[10:11], v[12:13]
	scratch_load_b64 v[12:13], off, off offset:560 th:TH_LOAD_LU ; 8-byte Folded Reload
	s_wait_loadcnt 0x0
	v_fmac_f64_e32 v[6:7], v[50:51], v[12:13]
	v_fmac_f64_e32 v[72:73], v[52:53], v[12:13]
	;; [unrolled: 1-line block ×4, first 2 shown]
	scratch_load_b128 v[38:41], off, off offset:144 ; 16-byte Folded Reload
	v_fmac_f64_e32 v[92:93], v[42:43], v[12:13]
	v_fmac_f64_e32 v[94:95], v[44:45], v[12:13]
	;; [unrolled: 1-line block ×4, first 2 shown]
	s_clause 0x3
	scratch_load_b64 v[8:9], off, off offset:608 th:TH_LOAD_LU
	scratch_load_b128 v[50:53], off, off offset:160
	scratch_load_b128 v[42:45], off, off offset:64
	;; [unrolled: 1-line block ×3, first 2 shown]
	s_wait_loadcnt 0x3
	v_fmac_f64_e32 v[68:69], v[38:39], v[8:9]
	s_wait_loadcnt 0x2
	v_fmac_f64_e32 v[2:3], v[50:51], v[8:9]
	v_fmac_f64_e32 v[4:5], v[52:53], v[8:9]
	s_wait_loadcnt 0x1
	v_fmac_f64_e32 v[14:15], v[42:43], v[8:9]
	;; [unrolled: 3-line block ×3, first 2 shown]
	v_fmac_f64_e32 v[66:67], v[12:13], v[8:9]
	v_fmac_f64_e32 v[70:71], v[40:41], v[8:9]
	scratch_load_b64 v[8:9], off, off offset:448 th:TH_LOAD_LU ; 8-byte Folded Reload
	s_wait_loadcnt 0x0
	v_fmac_f64_e32 v[6:7], v[50:51], v[8:9]
	v_fmac_f64_e32 v[72:73], v[52:53], v[8:9]
	;; [unrolled: 1-line block ×8, first 2 shown]
	s_clause 0x3
	scratch_load_b64 v[0:1], off, off offset:512 th:TH_LOAD_LU
	scratch_load_b128 v[8:11], off, off offset:640
	scratch_load_b128 v[38:41], off, off offset:96
	;; [unrolled: 1-line block ×3, first 2 shown]
	s_wait_loadcnt 0x3
	v_fmac_f64_e32 v[68:69], v[86:87], v[0:1]
	s_wait_loadcnt 0x2
	v_fmac_f64_e32 v[2:3], v[8:9], v[0:1]
	v_fmac_f64_e32 v[4:5], v[10:11], v[0:1]
	s_wait_loadcnt 0x1
	v_fmac_f64_e32 v[14:15], v[38:39], v[0:1]
	;; [unrolled: 3-line block ×3, first 2 shown]
	v_fmac_f64_e32 v[66:67], v[52:53], v[0:1]
	v_fmac_f64_e32 v[70:71], v[88:89], v[0:1]
	scratch_load_b64 v[0:1], off, off offset:432 th:TH_LOAD_LU ; 8-byte Folded Reload
	v_mov_b64_e32 v[42:43], v[40:41]
	v_mov_b64_e32 v[40:41], v[38:39]
	s_wait_loadcnt 0x0
	v_fmac_f64_e32 v[76:77], v[38:39], v[0:1]
	v_mov_b64_e32 v[38:39], v[60:61]
	v_fmac_f64_e32 v[6:7], v[8:9], v[0:1]
	v_fmac_f64_e32 v[72:73], v[10:11], v[0:1]
	scratch_load_b128 v[8:11], off, off offset:368 ; 16-byte Folded Reload
	v_mov_b64_e32 v[40:41], v[62:63]
	scratch_load_b128 v[60:63], off, off    ; 16-byte Folded Reload
	v_fmac_f64_e32 v[126:127], v[42:43], v[0:1]
	v_fmac_f64_e32 v[92:93], v[50:51], v[0:1]
	;; [unrolled: 1-line block ×5, first 2 shown]
	s_clause 0x4
	scratch_load_b64 v[0:1], off, off offset:528 th:TH_LOAD_LU
	scratch_load_b128 v[42:45], off, off offset:224
	scratch_load_b128 v[50:53], off, off offset:240
	scratch_load_b128 v[116:119], off, off offset:32
	scratch_load_b128 v[86:89], off, off offset:984
	s_wait_loadcnt 0x4
	v_fmac_f64_e32 v[64:65], v[8:9], v[0:1]
	s_wait_loadcnt 0x3
	v_fmac_f64_e32 v[2:3], v[42:43], v[0:1]
	v_fmac_f64_e32 v[4:5], v[44:45], v[0:1]
	s_wait_loadcnt 0x2
	v_fmac_f64_e32 v[14:15], v[50:51], v[0:1]
	v_fmac_f64_e32 v[32:33], v[52:53], v[0:1]
	;; [unrolled: 1-line block ×3, first 2 shown]
	s_wait_loadcnt 0x1
	v_fmac_f64_e32 v[68:69], v[116:117], v[0:1]
	v_fmac_f64_e32 v[70:71], v[118:119], v[0:1]
	scratch_load_b64 v[0:1], off, off offset:496 th:TH_LOAD_LU ; 8-byte Folded Reload
	s_wait_loadcnt 0x0
	v_fmac_f64_e32 v[6:7], v[42:43], v[0:1]
	v_fmac_f64_e32 v[72:73], v[44:45], v[0:1]
	;; [unrolled: 1-line block ×8, first 2 shown]
	s_clause 0x1
	scratch_load_b64 v[0:1], off, off offset:480 th:TH_LOAD_LU
	scratch_load_b128 v[8:11], off, off offset:16
	s_wait_loadcnt 0x1
	v_fmac_f64_e32 v[2:3], v[122:123], v[0:1]
	s_wait_loadcnt 0x0
	v_fmac_f64_e32 v[68:69], v[8:9], v[0:1]
	scratch_load_b128 v[8:11], off, off offset:16 ; 16-byte Folded Reload
	v_fmac_f64_e32 v[4:5], v[124:125], v[0:1]
	v_fmac_f64_e32 v[14:15], v[82:83], v[0:1]
	;; [unrolled: 1-line block ×5, first 2 shown]
	s_wait_loadcnt 0x0
	v_fmac_f64_e32 v[70:71], v[10:11], v[0:1]
	s_clause 0x1
	scratch_load_b64 v[0:1], off, off offset:400 th:TH_LOAD_LU
	scratch_load_b128 v[8:11], off, off offset:16
	s_wait_loadcnt 0x1
	v_fmac_f64_e32 v[6:7], v[122:123], v[0:1]
	v_fmac_f64_e32 v[72:73], v[124:125], v[0:1]
	v_fmac_f64_e32 v[76:77], v[82:83], v[0:1]
	v_fmac_f64_e32 v[126:127], v[84:85], v[0:1]
	v_fmac_f64_e32 v[92:93], v[110:111], v[0:1]
	v_fmac_f64_e32 v[94:95], v[112:113], v[0:1]
	s_wait_loadcnt 0x0
	v_fmac_f64_e32 v[98:99], v[8:9], v[0:1]
	v_fmac_f64_e32 v[100:101], v[10:11], v[0:1]
	scratch_load_b64 v[0:1], off, off offset:688 th:TH_LOAD_LU ; 8-byte Folded Reload
	s_wait_loadcnt 0x0
	v_fmac_f64_e32 v[2:3], v[78:79], v[0:1]
	v_fmac_f64_e32 v[4:5], v[80:81], v[0:1]
	;; [unrolled: 1-line block ×8, first 2 shown]
	scratch_load_b64 v[0:1], off, off offset:464 th:TH_LOAD_LU ; 8-byte Folded Reload
	s_wait_loadcnt 0x0
	v_fmac_f64_e32 v[6:7], v[78:79], v[0:1]
	v_fmac_f64_e32 v[72:73], v[80:81], v[0:1]
	;; [unrolled: 1-line block ×8, first 2 shown]
	s_clause 0x1
	scratch_load_b128 v[8:11], off, off offset:2008
	scratch_load_b64 v[0:1], off, off offset:1168 th:TH_LOAD_LU
	s_wait_loadcnt 0x0
	v_add_f64_e32 v[38:39], v[8:9], v[0:1]
	scratch_load_b64 v[0:1], off, off offset:1184 th:TH_LOAD_LU ; 8-byte Folded Reload
	s_wait_loadcnt 0x0
	v_add_f64_e32 v[40:41], v[10:11], v[0:1]
	s_clause 0x2
	scratch_load_b128 v[10:13], off, off offset:1992
	scratch_load_b64 v[0:1], off, off offset:904 th:TH_LOAD_LU
	scratch_load_b128 v[60:63], off, off offset:1976
	s_wait_loadcnt 0x1
	v_add_f64_e32 v[10:11], v[10:11], v[0:1]
	scratch_load_b64 v[0:1], off, off offset:912 th:TH_LOAD_LU ; 8-byte Folded Reload
	s_wait_loadcnt 0x1
	v_add_f64_e32 v[110:111], v[60:61], v[54:55]
	v_add_f64_e32 v[112:113], v[62:63], v[48:49]
	scratch_load_b128 v[60:63], off, off offset:1960 ; 16-byte Folded Reload
	s_wait_loadcnt 0x1
	v_add_f64_e32 v[12:13], v[12:13], v[0:1]
	s_wait_loadcnt 0x0
	v_add_f64_e32 v[60:61], v[60:61], v[2:3]
	v_add_f64_e32 v[62:63], v[62:63], v[6:7]
	s_clause 0x2
	scratch_store_b128 off, v[60:63], off offset:576
	scratch_load_b128 v[6:9], off, off offset:2072
	scratch_load_b64 v[0:1], off, off offset:1112 th:TH_LOAD_LU
	s_wait_loadcnt 0x0
	s_wait_xcnt 0x2
	v_add_f64_e32 v[60:61], v[6:7], v[0:1]
	scratch_load_b64 v[0:1], off, off offset:1176 th:TH_LOAD_LU ; 8-byte Folded Reload
	s_wait_loadcnt 0x0
	v_add_f64_e32 v[62:63], v[8:9], v[0:1]
	s_clause 0x2
	scratch_load_b128 v[6:9], off, off offset:2056
	scratch_load_b64 v[0:1], off, off offset:416 th:TH_LOAD_LU
	scratch_load_b128 v[84:87], off, off offset:2040
	s_wait_loadcnt 0x1
	v_add_f64_e32 v[6:7], v[6:7], v[0:1]
	scratch_load_b64 v[0:1], off, off offset:864 th:TH_LOAD_LU ; 8-byte Folded Reload
	s_wait_loadcnt 0x0
	v_add_f64_e32 v[8:9], v[8:9], v[0:1]
	scratch_store_b128 off, v[6:9], off offset:416 ; 16-byte Folded Spill
	s_wait_xcnt 0x0
	v_add_f64_e32 v[6:7], v[84:85], v[16:17]
	v_add_f64_e32 v[8:9], v[86:87], v[22:23]
	scratch_load_b128 v[84:87], off, off offset:2024 ; 16-byte Folded Reload
	s_wait_loadcnt 0x0
	v_add_f64_e32 v[2:3], v[84:85], v[4:5]
	v_add_f64_e32 v[4:5], v[86:87], v[72:73]
	s_clause 0x4
	scratch_store_b128 off, v[6:9], off offset:624
	scratch_store_b128 off, v[2:5], off offset:560
	scratch_load_b64 v[80:81], off, off offset:1504
	scratch_load_b128 v[2:5], off, off offset:2136
	scratch_load_b64 v[0:1], off, off offset:1096 th:TH_LOAD_LU
	s_wait_loadcnt 0x0
	v_add_f64_e32 v[86:87], v[2:3], v[0:1]
	scratch_load_b64 v[0:1], off, off offset:1104 th:TH_LOAD_LU ; 8-byte Folded Reload
	s_wait_loadcnt 0x0
	v_add_f64_e32 v[88:89], v[4:5], v[0:1]
	s_clause 0x1
	scratch_load_b128 v[2:5], off, off offset:2120
	scratch_load_b64 v[0:1], off, off offset:736 th:TH_LOAD_LU
	s_wait_loadcnt 0x1
	v_add_f64_e32 v[4:5], v[4:5], v[114:115]
	s_wait_loadcnt 0x0
	v_add_f64_e32 v[2:3], v[2:3], v[0:1]
	s_clause 0x1
	scratch_store_b128 off, v[2:5], off offset:752
	scratch_load_b128 v[2:5], off, off offset:2104
	s_wait_loadcnt 0x0
	v_add_f64_e32 v[2:3], v[2:3], v[36:37]
	v_add_f64_e32 v[4:5], v[4:5], v[20:21]
	s_clause 0x1
	scratch_store_b128 off, v[2:5], off offset:608
	scratch_load_b128 v[2:5], off, off offset:2088
	s_wait_loadcnt 0x0
	v_add_f64_e32 v[2:3], v[2:3], v[14:15]
	v_add_f64_e32 v[4:5], v[4:5], v[76:77]
	s_clause 0x2
	scratch_store_b128 off, v[2:5], off offset:736
	scratch_load_b128 v[2:5], off, off offset:2200
	scratch_load_b64 v[0:1], off, off offset:960 th:TH_LOAD_LU
	s_wait_loadcnt 0x0
	v_add_f64_e32 v[2:3], v[2:3], v[0:1]
	scratch_load_b64 v[0:1], off, off offset:1080 th:TH_LOAD_LU ; 8-byte Folded Reload
	s_wait_loadcnt 0x0
	v_add_f64_e32 v[4:5], v[4:5], v[0:1]
	s_clause 0x2
	scratch_store_b128 off, v[2:5], off offset:672
	scratch_load_b128 v[2:5], off, off offset:2184
	scratch_load_b64 v[0:1], off, off offset:656 th:TH_LOAD_LU
	s_wait_loadcnt 0x1
	v_add_f64_e32 v[4:5], v[4:5], v[96:97]
	s_wait_loadcnt 0x0
	v_add_f64_e32 v[2:3], v[2:3], v[0:1]
	s_clause 0x1
	scratch_store_b128 off, v[2:5], off offset:656
	scratch_load_b128 v[2:5], off, off offset:2168
	s_wait_loadcnt 0x0
	v_add_f64_e32 v[2:3], v[2:3], v[34:35]
	v_add_f64_e32 v[4:5], v[4:5], v[18:19]
	s_clause 0x1
	scratch_store_b128 off, v[2:5], off offset:592
	scratch_load_b128 v[0:3], off, off offset:2152
	s_wait_loadcnt 0x0
	v_add_f64_e32 v[0:1], v[0:1], v[32:33]
	v_add_f64_e32 v[2:3], v[2:3], v[126:127]
	s_clause 0x2
	scratch_store_b128 off, v[0:3], off offset:448
	scratch_load_b128 v[0:3], off, off offset:2264
	scratch_load_b64 v[4:5], off, off offset:872 th:TH_LOAD_LU
	s_wait_loadcnt 0x0
	v_add_f64_e32 v[82:83], v[0:1], v[4:5]
	scratch_load_b64 v[0:1], off, off offset:952 th:TH_LOAD_LU ; 8-byte Folded Reload
	s_wait_loadcnt 0x0
	v_add_f64_e32 v[84:85], v[2:3], v[0:1]
	s_clause 0x1
	scratch_load_b128 v[0:3], off, off offset:2248
	scratch_load_b64 v[4:5], off, off offset:720 th:TH_LOAD_LU
	s_wait_loadcnt 0x1
	v_add_f64_e32 v[2:3], v[2:3], v[90:91]
	s_wait_loadcnt 0x0
	v_add_f64_e32 v[0:1], v[0:1], v[4:5]
	s_clause 0x1
	scratch_store_b128 off, v[0:3], off offset:720
	scratch_load_b128 v[0:3], off, off offset:2232
	s_wait_loadcnt 0x0
	v_add_f64_e32 v[52:53], v[0:1], v[30:31]
	v_add_f64_e32 v[54:55], v[2:3], v[102:103]
	scratch_load_b128 v[0:3], off, off offset:2216 ; 16-byte Folded Reload
	s_wait_loadcnt 0x0
	v_add_f64_e32 v[0:1], v[0:1], v[64:65]
	v_add_f64_e32 v[2:3], v[2:3], v[92:93]
	s_clause 0x2
	scratch_store_b128 off, v[0:3], off offset:432
	scratch_load_b128 v[0:3], off, off offset:2328
	scratch_load_b64 v[4:5], off, off offset:800 th:TH_LOAD_LU
	s_wait_loadcnt 0x0
	v_add_f64_e32 v[0:1], v[0:1], v[4:5]
	scratch_load_b64 v[4:5], off, off offset:816 th:TH_LOAD_LU ; 8-byte Folded Reload
	s_wait_loadcnt 0x0
	v_add_f64_e32 v[2:3], v[2:3], v[4:5]
	s_clause 0x2
	scratch_store_b128 off, v[0:3], off offset:528
	scratch_load_b128 v[0:3], off, off offset:2312
	scratch_load_b64 v[4:5], off, off offset:848 th:TH_LOAD_LU
	s_wait_loadcnt 0x1
	v_add_f64_e32 v[50:51], v[2:3], v[120:121]
	s_wait_loadcnt 0x0
	v_add_f64_e32 v[48:49], v[0:1], v[4:5]
	scratch_load_b128 v[0:3], off, off offset:2296 ; 16-byte Folded Reload
	v_mov_b64_e32 v[122:123], v[50:51]
	v_mov_b64_e32 v[120:121], v[48:49]
	s_wait_loadcnt 0x0
	v_add_f64_e32 v[0:1], v[0:1], v[28:29]
	v_add_f64_e32 v[2:3], v[2:3], v[104:105]
	s_clause 0x1
	scratch_store_b128 off, v[0:3], off offset:512
	scratch_load_b128 v[0:3], off, off offset:2280
	s_wait_loadcnt 0x0
	v_add_f64_e32 v[0:1], v[0:1], v[66:67]
	v_add_f64_e32 v[2:3], v[2:3], v[94:95]
	s_clause 0x2
	scratch_store_b128 off, v[0:3], off offset:496
	scratch_load_b128 v[0:3], off, off offset:2392
	scratch_load_b64 v[4:5], off, off offset:768 th:TH_LOAD_LU
	s_wait_loadcnt 0x0
	v_add_f64_e32 v[0:1], v[0:1], v[4:5]
	scratch_load_b64 v[4:5], off, off offset:784 th:TH_LOAD_LU ; 8-byte Folded Reload
	s_wait_loadcnt 0x0
	v_add_f64_e32 v[2:3], v[2:3], v[4:5]
	s_clause 0x2
	scratch_store_b128 off, v[0:3], off offset:784
	scratch_load_b128 v[0:3], off, off offset:2376
	scratch_load_b64 v[4:5], off, off offset:832 th:TH_LOAD_LU
	s_wait_loadcnt 0x1
	v_add_f64_e32 v[78:79], v[2:3], v[58:59]
	s_wait_loadcnt 0x0
	v_add_f64_e32 v[76:77], v[0:1], v[4:5]
	scratch_load_b128 v[0:3], off, off offset:2360 ; 16-byte Folded Reload
	s_wait_loadcnt 0x0
	v_add_f64_e32 v[0:1], v[0:1], v[26:27]
	v_add_f64_e32 v[2:3], v[2:3], v[106:107]
	s_clause 0x1
	scratch_store_b128 off, v[0:3], off offset:400
	scratch_load_b128 v[0:3], off, off offset:2344
	s_wait_loadcnt 0x0
	v_add_f64_e32 v[0:1], v[0:1], v[68:69]
	v_add_f64_e32 v[2:3], v[2:3], v[98:99]
	s_clause 0x2
	scratch_store_b128 off, v[0:3], off offset:464
	scratch_load_b128 v[0:3], off, off offset:2456
	scratch_load_b64 v[4:5], off, off offset:544 th:TH_LOAD_LU
	s_wait_loadcnt 0x0
	v_add_f64_e32 v[32:33], v[0:1], v[4:5]
	scratch_load_b64 v[0:1], off, off offset:704 th:TH_LOAD_LU ; 8-byte Folded Reload
	s_wait_loadcnt 0x0
	v_add_f64_e32 v[34:35], v[2:3], v[0:1]
	scratch_load_b128 v[0:3], off, off offset:2440 ; 16-byte Folded Reload
	s_wait_loadcnt 0x0
	v_add_f64_e32 v[0:1], v[0:1], v[46:47]
	v_add_f64_e32 v[2:3], v[2:3], v[56:57]
	s_clause 0x1
	scratch_store_b128 off, v[0:3], off offset:480
	scratch_load_b128 v[0:3], off, off offset:2424
	s_wait_loadcnt 0x0
	v_add_f64_e32 v[2:3], v[2:3], v[108:109]
	v_add_f64_e32 v[0:1], v[0:1], v[24:25]
	s_delay_alu instid0(VALU_DEP_2) | instskip(NEXT) | instid1(VALU_DEP_2)
	v_mov_b64_e32 v[66:67], v[2:3]
	v_mov_b64_e32 v[64:65], v[0:1]
	scratch_load_b128 v[0:3], off, off offset:2408 ; 16-byte Folded Reload
	s_wait_loadcnt 0x0
	v_add_f64_e32 v[0:1], v[0:1], v[70:71]
	v_add_f64_e32 v[2:3], v[2:3], v[100:101]
	s_clause 0x2
	scratch_store_b128 off, v[0:3], off offset:544
	scratch_load_b64 v[4:5], off, off offset:880
	scratch_load_b64 v[0:1], off, off offset:896 th:TH_LOAD_LU
	s_wait_loadcnt 0x0
	global_store_b64 v[4:5], v[0:1], off
	s_clause 0x4
	scratch_load_b128 v[92:95], off, off offset:1016
	scratch_load_b128 v[96:99], off, off offset:1032
	;; [unrolled: 1-line block ×4, first 2 shown]
	scratch_load_b64 v[6:7], off, off offset:888
.LBB0_41:                               ;   in Loop: Header=BB0_42 Depth=1
	s_clause 0x2
	scratch_load_b128 v[0:3], off, off offset:288
	scratch_load_b128 v[42:45], off, off offset:176
	;; [unrolled: 1-line block ×3, first 2 shown]
	s_mov_b32 m0, s2
	v_add_nc_u64_e32 v[4:5], 8, v[4:5]
	s_wait_loadcnt 0x3
	v_add_nc_u64_e32 v[6:7], 8, v[6:7]
	s_add_co_i32 s3, s3, -1
	scratch_load_b128 v[68:71], off, off offset:256 ; 16-byte Folded Reload
	s_cmp_lg_u32 s3, 0
	s_wait_loadcnt 0x3
	v_fma_f64 v[16:17], v[0:1], v[92:93], 0
	v_fma_f64 v[18:19], v[92:93], v[2:3], 0
	scratch_load_b128 v[0:3], off, off offset:968 ; 16-byte Folded Reload
	s_wait_loadcnt 0x0
	v_fma_f64 v[20:21], v[92:93], v[0:1], 0
	v_fma_f64 v[22:23], v[92:93], v[2:3], 0
	scratch_load_b128 v[0:3], off, off offset:192 ; 16-byte Folded Reload
	;; [unrolled: 4-line block ×4, first 2 shown]
	s_wait_loadcnt 0x0
	v_fmac_f64_e32 v[16:17], v[0:1], v[94:95]
	v_fmac_f64_e32 v[18:19], v[94:95], v[2:3]
	scratch_load_b128 v[0:3], off, off offset:304 ; 16-byte Folded Reload
	s_wait_loadcnt 0x0
	v_fmac_f64_e32 v[24:25], v[94:95], v[0:1]
	v_fmac_f64_e32 v[26:27], v[94:95], v[2:3]
	scratch_load_b128 v[0:3], off, off offset:112 ; 16-byte Folded Reload
	;; [unrolled: 4-line block ×4, first 2 shown]
	v_fmac_f64_e32 v[20:21], v[94:95], v[42:43]
	v_fmac_f64_e32 v[22:23], v[94:95], v[44:45]
	s_wait_loadcnt 0x0
	s_delay_alu instid0(VALU_DEP_2) | instskip(NEXT) | instid1(VALU_DEP_2)
	v_fmac_f64_e32 v[20:21], v[96:97], v[0:1]
	v_fmac_f64_e32 v[22:23], v[96:97], v[2:3]
	scratch_load_b128 v[0:3], off, off offset:352 ; 16-byte Folded Reload
	s_wait_loadcnt 0x0
	v_fmac_f64_e32 v[24:25], v[96:97], v[0:1]
	v_fmac_f64_e32 v[26:27], v[96:97], v[2:3]
	scratch_load_b128 v[0:3], off, off offset:336 ; 16-byte Folded Reload
	s_wait_loadcnt 0x0
	;; [unrolled: 4-line block ×6, first 2 shown]
	v_fmac_f64_e32 v[28:29], v[98:99], v[0:1]
	v_fmac_f64_e32 v[30:31], v[98:99], v[2:3]
	scratch_load_b128 v[0:3], off, off offset:640 ; 16-byte Folded Reload
	v_fmac_f64_e32 v[28:29], v[100:101], v[68:69]
	v_fmac_f64_e32 v[30:31], v[100:101], v[70:71]
	s_wait_loadcnt 0x0
	v_fmac_f64_e32 v[16:17], v[0:1], v[100:101]
	v_fmac_f64_e32 v[18:19], v[100:101], v[2:3]
	scratch_load_b128 v[0:3], off, off offset:96 ; 16-byte Folded Reload
	s_wait_loadcnt 0x0
	v_fmac_f64_e32 v[20:21], v[100:101], v[0:1]
	v_fmac_f64_e32 v[22:23], v[100:101], v[2:3]
	scratch_load_b128 v[0:3], off, off offset:128 ; 16-byte Folded Reload
	s_wait_loadcnt 0x0
	v_fmac_f64_e32 v[24:25], v[100:101], v[0:1]
	v_fmac_f64_e32 v[26:27], v[100:101], v[2:3]
	scratch_load_b128 v[0:3], off, off offset:224 ; 16-byte Folded Reload
	s_wait_loadcnt 0x0
	v_fmac_f64_e32 v[16:17], v[0:1], v[102:103]
	v_fmac_f64_e32 v[18:19], v[102:103], v[2:3]
	scratch_load_b128 v[0:3], off, off offset:368 ; 16-byte Folded Reload
	s_wait_loadcnt 0x0
	v_fmac_f64_e32 v[24:25], v[102:103], v[0:1]
	v_fmac_f64_e32 v[26:27], v[102:103], v[2:3]
	scratch_load_b128 v[0:3], off, off offset:32 ; 16-byte Folded Reload
	v_fmac_f64_e32 v[20:21], v[102:103], v[72:73]
	v_fmac_f64_e32 v[22:23], v[102:103], v[74:75]
	s_wait_loadcnt 0x0
	v_fmac_f64_e32 v[28:29], v[102:103], v[0:1]
	v_fmac_f64_e32 v[30:31], v[102:103], v[2:3]
	scratch_load_b128 v[0:3], off, off offset:1136 ; 16-byte Folded Reload
	s_wait_loadcnt 0x0
	v_fmac_f64_e32 v[16:17], v[0:1], v[104:105]
	v_fmac_f64_e32 v[18:19], v[104:105], v[2:3]
	scratch_load_b128 v[0:3], off, off offset:1120 ; 16-byte Folded Reload
	s_wait_loadcnt 0x0
	v_fmac_f64_e32 v[20:21], v[104:105], v[0:1]
	v_fmac_f64_e32 v[22:23], v[104:105], v[2:3]
	scratch_load_b128 v[0:3], off, off offset:1152 ; 16-byte Folded Reload
	s_wait_loadcnt 0x0
	v_fmac_f64_e32 v[24:25], v[104:105], v[0:1]
	v_fmac_f64_e32 v[26:27], v[104:105], v[2:3]
	scratch_load_b128 v[0:3], off, off offset:16 ; 16-byte Folded Reload
	s_wait_loadcnt 0x0
	v_fmac_f64_e32 v[28:29], v[104:105], v[0:1]
	v_fmac_f64_e32 v[30:31], v[104:105], v[2:3]
	scratch_load_b128 v[0:3], off, off offset:1000 ; 16-byte Folded Reload
	s_wait_loadcnt 0x0
	v_fmac_f64_e32 v[16:17], v[0:1], v[106:107]
	v_fmac_f64_e32 v[18:19], v[106:107], v[2:3]
	scratch_load_b128 v[0:3], off, off offset:984 ; 16-byte Folded Reload
	s_wait_loadcnt 0x0
	v_fmac_f64_e32 v[20:21], v[106:107], v[0:1]
	v_fmac_f64_e32 v[22:23], v[106:107], v[2:3]
	scratch_load_b128 v[0:3], off, off      ; 16-byte Folded Reload
	s_wait_loadcnt 0x0
	v_fmac_f64_e32 v[24:25], v[106:107], v[0:1]
	v_fmac_f64_e32 v[26:27], v[106:107], v[2:3]
	scratch_load_b128 v[0:3], off, off offset:384 ; 16-byte Folded Reload
	s_wait_loadcnt 0x0
	v_fmac_f64_e32 v[30:31], v[106:107], v[2:3]
	scratch_load_b64 v[2:3], off, off offset:1616 ; 8-byte Folded Reload
	v_fmac_f64_e32 v[28:29], v[106:107], v[0:1]
	v_movrels_b32_e32 v1, v17
	v_movrels_b32_e32 v0, v16
	s_wait_loadcnt 0x0
	s_delay_alu instid0(VALU_DEP_1) | instskip(NEXT) | instid1(VALU_DEP_1)
	v_add_f64_e32 v[0:1], v[2:3], v[0:1]
	v_movreld_b32_e32 v16, v0
	s_delay_alu instid0(VALU_DEP_2)
	v_movreld_b32_e32 v17, v1
	v_mov_b64_e32 v[106:107], v[30:31]
	v_mov_b64_e32 v[104:105], v[28:29]
	;; [unrolled: 1-line block ×8, first 2 shown]
	s_cbranch_scc0 .LBB0_49
.LBB0_42:                               ; =>This Inner Loop Header: Depth=1
	s_and_not1_b32 vcc_lo, exec_lo, s1
	s_cbranch_vccnz .LBB0_48
; %bb.43:                               ;   in Loop: Header=BB0_42 Depth=1
	s_clause 0x1
	scratch_load_b64 v[0:1], off, off offset:1200
	scratch_load_b64 v[2:3], off, off offset:1192
	s_wait_loadcnt 0x1
	v_fma_f64 v[0:1], v[92:93], v[0:1], 0
	s_wait_loadcnt 0x0
	s_delay_alu instid0(VALU_DEP_1)
	v_fmac_f64_e32 v[0:1], v[94:95], v[2:3]
	scratch_load_b64 v[2:3], off, off offset:1216 ; 8-byte Folded Reload
	s_wait_loadcnt 0x0
	v_fmac_f64_e32 v[0:1], v[96:97], v[2:3]
	scratch_load_b64 v[2:3], off, off offset:1208 ; 8-byte Folded Reload
	s_wait_loadcnt 0x0
	;; [unrolled: 3-line block ×5, first 2 shown]
	v_fmac_f64_e32 v[0:1], v[104:105], v[2:3]
	s_delay_alu instid0(VALU_DEP_1)
	v_fmac_f64_e32 v[0:1], v[106:107], v[80:81]
	global_store_b64 v[6:7], v[0:1], off
	s_cbranch_execnz .LBB0_45
.LBB0_44:                               ;   in Loop: Header=BB0_42 Depth=1
	global_store_b64 v[6:7], v[92:93], off
.LBB0_45:                               ;   in Loop: Header=BB0_42 Depth=1
	s_and_not1_b32 vcc_lo, exec_lo, s0
	s_cbranch_vccnz .LBB0_41
; %bb.46:                               ;   in Loop: Header=BB0_42 Depth=1
	s_clause 0x1
	scratch_store_b64 off, v[6:7], off offset:888
	scratch_store_b64 off, v[4:5], off offset:880
	v_mov_b64_e32 v[70:71], v[44:45]
	s_clause 0x5
	scratch_store_b128 off, v[76:79], off offset:816
	scratch_store_b128 off, v[92:95], off offset:1016
	;; [unrolled: 1-line block ×6, first 2 shown]
	v_mov_b64_e32 v[68:69], v[42:43]
	s_clause 0x8
	scratch_load_b128 v[102:105], off, off offset:432
	scratch_load_b128 v[90:93], off, off offset:720
	;; [unrolled: 1-line block ×4, first 2 shown]
	scratch_store_b128 off, v[110:113], off offset:848
	scratch_load_b128 v[42:45], off, off offset:752
	scratch_store_b128 off, v[64:67], off offset:800
	scratch_store_b128 off, v[82:85], off offset:688
	scratch_load_b128 v[76:79], off, off offset:416
	v_mov_b64_e32 v[16:17], v[38:39]
	s_and_not1_b32 vcc_lo, exec_lo, s1
	s_cbranch_vccnz .LBB0_40
; %bb.47:                               ;   in Loop: Header=BB0_42 Depth=1
	s_clause 0x9
	scratch_load_b64 v[8:9], off, off offset:1200
	scratch_load_b64 v[18:19], off, off offset:1216
	;; [unrolled: 1-line block ×4, first 2 shown]
	scratch_load_b128 v[4:7], off, off offset:672
	scratch_load_b128 v[26:29], off, off offset:688
	scratch_load_b64 v[22:23], off, off offset:1232
	scratch_load_b64 v[20:21], off, off offset:1224
	scratch_load_b128 v[56:59], off, off offset:528
	scratch_load_b128 v[64:67], off, off offset:656
	v_mov_b64_e32 v[30:31], v[80:81]
	s_clause 0x5
	scratch_load_b128 v[72:75], off, off offset:480
	scratch_load_b128 v[80:83], off, off offset:400
	;; [unrolled: 1-line block ×6, first 2 shown]
	s_wait_loadcnt 0xf
	v_mul_f64_e32 v[0:1], v[38:39], v[8:9]
	s_delay_alu instid0(VALU_DEP_1) | instskip(SKIP_2) | instid1(VALU_DEP_1)
	v_fma_f64 v[16:17], v[0:1], v[8:9], 0
	v_mul_f64_e32 v[0:1], v[60:61], v[8:9]
	s_wait_loadcnt 0xc
	v_fmac_f64_e32 v[16:17], v[0:1], v[2:3]
	v_mul_f64_e32 v[0:1], v[86:87], v[8:9]
	s_delay_alu instid0(VALU_DEP_1) | instskip(SKIP_2) | instid1(VALU_DEP_1)
	v_fmac_f64_e32 v[16:17], v[0:1], v[18:19]
	s_wait_loadcnt 0xb
	v_mul_f64_e32 v[0:1], v[4:5], v[8:9]
	v_fmac_f64_e32 v[16:17], v[0:1], v[14:15]
	s_wait_loadcnt 0xa
	v_mul_f64_e32 v[0:1], v[26:27], v[8:9]
	scratch_load_b128 v[24:27], off, off offset:784 ; 16-byte Folded Reload
	s_wait_loadcnt 0xa
	v_fmac_f64_e32 v[16:17], v[0:1], v[22:23]
	s_wait_loadcnt 0x8
	v_mul_f64_e32 v[0:1], v[56:57], v[8:9]
	s_delay_alu instid0(VALU_DEP_1)
	v_fmac_f64_e32 v[16:17], v[0:1], v[20:21]
	s_wait_loadcnt 0x0
	v_mul_f64_e32 v[0:1], v[24:25], v[8:9]
	scratch_load_b64 v[24:25], off, off offset:1240 ; 8-byte Folded Reload
	s_wait_loadcnt 0x0
	v_fmac_f64_e32 v[16:17], v[0:1], v[24:25]
	v_mul_f64_e32 v[0:1], v[32:33], v[8:9]
	s_delay_alu instid0(VALU_DEP_1) | instskip(SKIP_1) | instid1(VALU_DEP_1)
	v_fmac_f64_e32 v[16:17], v[0:1], v[30:31]
	v_mul_f64_e32 v[0:1], v[40:41], v[2:3]
	v_fmac_f64_e32 v[16:17], v[0:1], v[8:9]
	v_mul_f64_e32 v[0:1], v[62:63], v[2:3]
	s_delay_alu instid0(VALU_DEP_1) | instskip(SKIP_1) | instid1(VALU_DEP_1)
	v_fmac_f64_e32 v[16:17], v[0:1], v[2:3]
	v_mul_f64_e32 v[0:1], v[88:89], v[2:3]
	v_fmac_f64_e32 v[16:17], v[0:1], v[18:19]
	v_mul_f64_e32 v[0:1], v[6:7], v[2:3]
	scratch_load_b128 v[4:7], off, off offset:512 ; 16-byte Folded Reload
	v_fmac_f64_e32 v[16:17], v[0:1], v[14:15]
	v_mul_f64_e32 v[0:1], v[28:29], v[2:3]
	s_delay_alu instid0(VALU_DEP_1)
	v_fmac_f64_e32 v[16:17], v[0:1], v[22:23]
	v_mul_f64_e32 v[0:1], v[58:59], v[2:3]
	scratch_load_b128 v[56:59], off, off offset:848 ; 16-byte Folded Reload
	v_fmac_f64_e32 v[16:17], v[0:1], v[20:21]
	v_mul_f64_e32 v[0:1], v[26:27], v[2:3]
	scratch_load_b128 v[26:29], off, off offset:816 ; 16-byte Folded Reload
	v_fmac_f64_e32 v[16:17], v[0:1], v[24:25]
	v_mul_f64_e32 v[0:1], v[34:35], v[2:3]
	s_delay_alu instid0(VALU_DEP_1) | instskip(SKIP_1) | instid1(VALU_DEP_1)
	v_fmac_f64_e32 v[16:17], v[0:1], v[30:31]
	v_mul_f64_e32 v[0:1], v[10:11], v[18:19]
	v_fmac_f64_e32 v[16:17], v[0:1], v[8:9]
	v_mul_f64_e32 v[0:1], v[76:77], v[18:19]
	s_delay_alu instid0(VALU_DEP_1) | instskip(SKIP_1) | instid1(VALU_DEP_1)
	v_fmac_f64_e32 v[16:17], v[0:1], v[2:3]
	v_mul_f64_e32 v[0:1], v[42:43], v[18:19]
	;; [unrolled: 5-line block ×3, first 2 shown]
	v_fmac_f64_e32 v[16:17], v[0:1], v[22:23]
	v_mul_f64_e32 v[0:1], v[120:121], v[18:19]
	s_delay_alu instid0(VALU_DEP_1) | instskip(SKIP_2) | instid1(VALU_DEP_1)
	v_fmac_f64_e32 v[16:17], v[0:1], v[20:21]
	s_wait_loadcnt 0x0
	v_mul_f64_e32 v[0:1], v[26:27], v[18:19]
	v_fmac_f64_e32 v[16:17], v[0:1], v[24:25]
	v_mul_f64_e32 v[0:1], v[72:73], v[18:19]
	s_delay_alu instid0(VALU_DEP_1) | instskip(SKIP_1) | instid1(VALU_DEP_1)
	v_fmac_f64_e32 v[16:17], v[0:1], v[30:31]
	v_mul_f64_e32 v[0:1], v[12:13], v[14:15]
	v_fmac_f64_e32 v[16:17], v[0:1], v[8:9]
	v_mul_f64_e32 v[0:1], v[78:79], v[14:15]
	s_delay_alu instid0(VALU_DEP_1) | instskip(SKIP_1) | instid1(VALU_DEP_1)
	v_fmac_f64_e32 v[16:17], v[0:1], v[2:3]
	v_mul_f64_e32 v[0:1], v[44:45], v[14:15]
	v_fmac_f64_e32 v[16:17], v[0:1], v[18:19]
	v_mul_f64_e32 v[0:1], v[66:67], v[14:15]
	scratch_load_b128 v[64:67], off, off offset:608 ; 16-byte Folded Reload
	v_fmac_f64_e32 v[16:17], v[0:1], v[14:15]
	v_mul_f64_e32 v[0:1], v[92:93], v[14:15]
	s_delay_alu instid0(VALU_DEP_1) | instskip(SKIP_1) | instid1(VALU_DEP_1)
	v_fmac_f64_e32 v[16:17], v[0:1], v[22:23]
	v_mul_f64_e32 v[0:1], v[122:123], v[14:15]
	v_fmac_f64_e32 v[16:17], v[0:1], v[20:21]
	v_mul_f64_e32 v[0:1], v[28:29], v[14:15]
	scratch_load_b128 v[26:29], off, off offset:592 ; 16-byte Folded Reload
	v_fmac_f64_e32 v[16:17], v[0:1], v[24:25]
	v_mul_f64_e32 v[0:1], v[74:75], v[14:15]
	scratch_load_b128 v[72:75], off, off offset:624 ; 16-byte Folded Reload
	v_fmac_f64_e32 v[16:17], v[0:1], v[30:31]
	v_mul_f64_e32 v[0:1], v[56:57], v[22:23]
	s_delay_alu instid0(VALU_DEP_1) | instskip(SKIP_2) | instid1(VALU_DEP_1)
	v_fmac_f64_e32 v[16:17], v[0:1], v[8:9]
	s_wait_loadcnt 0x0
	v_mul_f64_e32 v[0:1], v[72:73], v[22:23]
	v_fmac_f64_e32 v[16:17], v[0:1], v[2:3]
	v_mul_f64_e32 v[0:1], v[64:65], v[22:23]
	s_delay_alu instid0(VALU_DEP_1) | instskip(SKIP_1) | instid1(VALU_DEP_1)
	v_fmac_f64_e32 v[16:17], v[0:1], v[18:19]
	v_mul_f64_e32 v[0:1], v[26:27], v[22:23]
	v_fmac_f64_e32 v[16:17], v[0:1], v[14:15]
	v_mul_f64_e32 v[0:1], v[46:47], v[22:23]
	s_delay_alu instid0(VALU_DEP_1) | instskip(SKIP_1) | instid1(VALU_DEP_1)
	v_fmac_f64_e32 v[16:17], v[0:1], v[22:23]
	;; [unrolled: 5-line block ×3, first 2 shown]
	v_mul_f64_e32 v[0:1], v[52:53], v[22:23]
	v_fmac_f64_e32 v[16:17], v[0:1], v[30:31]
	v_mul_f64_e32 v[0:1], v[58:59], v[20:21]
	s_delay_alu instid0(VALU_DEP_1)
	v_fmac_f64_e32 v[16:17], v[0:1], v[8:9]
	v_mul_f64_e32 v[0:1], v[74:75], v[20:21]
	scratch_load_b128 v[72:75], off, off offset:464 ; 16-byte Folded Reload
	v_fmac_f64_e32 v[16:17], v[0:1], v[2:3]
	v_mul_f64_e32 v[0:1], v[66:67], v[20:21]
	scratch_load_b128 v[64:67], off, off offset:560 ; 16-byte Folded Reload
	;; [unrolled: 3-line block ×3, first 2 shown]
	v_fmac_f64_e32 v[16:17], v[0:1], v[14:15]
	v_mul_f64_e32 v[0:1], v[48:49], v[20:21]
	s_delay_alu instid0(VALU_DEP_1) | instskip(SKIP_1) | instid1(VALU_DEP_1)
	v_fmac_f64_e32 v[16:17], v[0:1], v[22:23]
	v_mul_f64_e32 v[0:1], v[6:7], v[20:21]
	v_fmac_f64_e32 v[16:17], v[0:1], v[20:21]
	v_mul_f64_e32 v[0:1], v[82:83], v[20:21]
	s_delay_alu instid0(VALU_DEP_1) | instskip(SKIP_1) | instid1(VALU_DEP_1)
	v_fmac_f64_e32 v[16:17], v[0:1], v[24:25]
	v_mul_f64_e32 v[0:1], v[54:55], v[20:21]
	v_fmac_f64_e32 v[16:17], v[0:1], v[30:31]
	v_mul_f64_e32 v[0:1], v[110:111], v[24:25]
	s_delay_alu instid0(VALU_DEP_1) | instskip(SKIP_2) | instid1(VALU_DEP_1)
	v_fmac_f64_e32 v[16:17], v[0:1], v[8:9]
	s_wait_loadcnt 0x1
	v_mul_f64_e32 v[0:1], v[64:65], v[24:25]
	v_fmac_f64_e32 v[16:17], v[0:1], v[2:3]
	v_mul_f64_e32 v[0:1], v[114:115], v[24:25]
	s_delay_alu instid0(VALU_DEP_1) | instskip(SKIP_1) | instid1(VALU_DEP_1)
	v_fmac_f64_e32 v[16:17], v[0:1], v[18:19]
	v_mul_f64_e32 v[0:1], v[106:107], v[24:25]
	v_fmac_f64_e32 v[16:17], v[0:1], v[14:15]
	v_mul_f64_e32 v[0:1], v[102:103], v[24:25]
	s_delay_alu instid0(VALU_DEP_1) | instskip(SKIP_1) | instid1(VALU_DEP_1)
	v_fmac_f64_e32 v[16:17], v[0:1], v[22:23]
	v_mul_f64_e32 v[0:1], v[94:95], v[24:25]
	v_fmac_f64_e32 v[16:17], v[0:1], v[20:21]
	v_mul_f64_e32 v[0:1], v[72:73], v[24:25]
	s_delay_alu instid0(VALU_DEP_1) | instskip(SKIP_2) | instid1(VALU_DEP_1)
	v_fmac_f64_e32 v[16:17], v[0:1], v[24:25]
	s_wait_loadcnt 0x0
	v_mul_f64_e32 v[0:1], v[26:27], v[24:25]
	v_fmac_f64_e32 v[16:17], v[0:1], v[30:31]
	v_mul_f64_e32 v[0:1], v[112:113], v[30:31]
	s_delay_alu instid0(VALU_DEP_1) | instskip(SKIP_1) | instid1(VALU_DEP_1)
	v_fmac_f64_e32 v[16:17], v[0:1], v[8:9]
	v_mul_f64_e32 v[0:1], v[66:67], v[30:31]
	v_fmac_f64_e32 v[16:17], v[0:1], v[2:3]
	v_mul_f64_e32 v[0:1], v[116:117], v[30:31]
	s_delay_alu instid0(VALU_DEP_1) | instskip(SKIP_1) | instid1(VALU_DEP_1)
	v_fmac_f64_e32 v[16:17], v[0:1], v[18:19]
	;; [unrolled: 5-line block ×4, first 2 shown]
	v_mul_f64_e32 v[0:1], v[28:29], v[30:31]
	v_fmac_f64_e32 v[16:17], v[0:1], v[30:31]
	s_branch .LBB0_40
.LBB0_48:                               ;   in Loop: Header=BB0_42 Depth=1
	s_branch .LBB0_44
.LBB0_49:
	s_sendmsg sendmsg(MSG_DEALLOC_VGPRS)
	s_endpgm
	.section	.rodata,"a",@progbits
	.p2align	6, 0x0
	.amdhsa_kernel _Z6kalmanILi8EEvPKdiS1_S1_S1_S1_S1_bS1_iPdS2_S2_iiS2_bS2_
		.amdhsa_group_segment_fixed_size 0
		.amdhsa_private_segment_fixed_size 2492
		.amdhsa_kernarg_size 392
		.amdhsa_user_sgpr_count 2
		.amdhsa_user_sgpr_dispatch_ptr 0
		.amdhsa_user_sgpr_queue_ptr 0
		.amdhsa_user_sgpr_kernarg_segment_ptr 1
		.amdhsa_user_sgpr_dispatch_id 0
		.amdhsa_user_sgpr_kernarg_preload_length 0
		.amdhsa_user_sgpr_kernarg_preload_offset 0
		.amdhsa_user_sgpr_private_segment_size 0
		.amdhsa_wavefront_size32 1
		.amdhsa_uses_dynamic_stack 0
		.amdhsa_enable_private_segment 1
		.amdhsa_system_sgpr_workgroup_id_x 1
		.amdhsa_system_sgpr_workgroup_id_y 0
		.amdhsa_system_sgpr_workgroup_id_z 0
		.amdhsa_system_sgpr_workgroup_info 0
		.amdhsa_system_vgpr_workitem_id 0
		.amdhsa_next_free_vgpr 128
		.amdhsa_next_free_sgpr 14
		.amdhsa_named_barrier_count 0
		.amdhsa_reserve_vcc 1
		.amdhsa_float_round_mode_32 0
		.amdhsa_float_round_mode_16_64 0
		.amdhsa_float_denorm_mode_32 3
		.amdhsa_float_denorm_mode_16_64 3
		.amdhsa_fp16_overflow 0
		.amdhsa_memory_ordered 1
		.amdhsa_forward_progress 1
		.amdhsa_inst_pref_size 255
		.amdhsa_round_robin_scheduling 0
		.amdhsa_exception_fp_ieee_invalid_op 0
		.amdhsa_exception_fp_denorm_src 0
		.amdhsa_exception_fp_ieee_div_zero 0
		.amdhsa_exception_fp_ieee_overflow 0
		.amdhsa_exception_fp_ieee_underflow 0
		.amdhsa_exception_fp_ieee_inexact 0
		.amdhsa_exception_int_div_zero 0
	.end_amdhsa_kernel
	.section	.text._Z6kalmanILi8EEvPKdiS1_S1_S1_S1_S1_bS1_iPdS2_S2_iiS2_bS2_,"axG",@progbits,_Z6kalmanILi8EEvPKdiS1_S1_S1_S1_S1_bS1_iPdS2_S2_iiS2_bS2_,comdat
.Lfunc_end0:
	.size	_Z6kalmanILi8EEvPKdiS1_S1_S1_S1_S1_bS1_iPdS2_S2_iiS2_bS2_, .Lfunc_end0-_Z6kalmanILi8EEvPKdiS1_S1_S1_S1_S1_bS1_iPdS2_S2_iiS2_bS2_
                                        ; -- End function
	.set _Z6kalmanILi8EEvPKdiS1_S1_S1_S1_S1_bS1_iPdS2_S2_iiS2_bS2_.num_vgpr, 128
	.set _Z6kalmanILi8EEvPKdiS1_S1_S1_S1_S1_bS1_iPdS2_S2_iiS2_bS2_.num_agpr, 0
	.set _Z6kalmanILi8EEvPKdiS1_S1_S1_S1_S1_bS1_iPdS2_S2_iiS2_bS2_.numbered_sgpr, 14
	.set _Z6kalmanILi8EEvPKdiS1_S1_S1_S1_S1_bS1_iPdS2_S2_iiS2_bS2_.num_named_barrier, 0
	.set _Z6kalmanILi8EEvPKdiS1_S1_S1_S1_S1_bS1_iPdS2_S2_iiS2_bS2_.private_seg_size, 2492
	.set _Z6kalmanILi8EEvPKdiS1_S1_S1_S1_S1_bS1_iPdS2_S2_iiS2_bS2_.uses_vcc, 1
	.set _Z6kalmanILi8EEvPKdiS1_S1_S1_S1_S1_bS1_iPdS2_S2_iiS2_bS2_.uses_flat_scratch, 1
	.set _Z6kalmanILi8EEvPKdiS1_S1_S1_S1_S1_bS1_iPdS2_S2_iiS2_bS2_.has_dyn_sized_stack, 0
	.set _Z6kalmanILi8EEvPKdiS1_S1_S1_S1_S1_bS1_iPdS2_S2_iiS2_bS2_.has_recursion, 0
	.set _Z6kalmanILi8EEvPKdiS1_S1_S1_S1_S1_bS1_iPdS2_S2_iiS2_bS2_.has_indirect_call, 0
	.section	.AMDGPU.csdata,"",@progbits
; Kernel info:
; codeLenInByte = 42364
; TotalNumSgprs: 16
; NumVgprs: 128
; ScratchSize: 2492
; MemoryBound: 0
; FloatMode: 240
; IeeeMode: 1
; LDSByteSize: 0 bytes/workgroup (compile time only)
; SGPRBlocks: 0
; VGPRBlocks: 7
; NumSGPRsForWavesPerEU: 16
; NumVGPRsForWavesPerEU: 128
; NamedBarCnt: 0
; Occupancy: 8
; WaveLimiterHint : 0
; COMPUTE_PGM_RSRC2:SCRATCH_EN: 1
; COMPUTE_PGM_RSRC2:USER_SGPR: 2
; COMPUTE_PGM_RSRC2:TRAP_HANDLER: 0
; COMPUTE_PGM_RSRC2:TGID_X_EN: 1
; COMPUTE_PGM_RSRC2:TGID_Y_EN: 0
; COMPUTE_PGM_RSRC2:TGID_Z_EN: 0
; COMPUTE_PGM_RSRC2:TIDIG_COMP_CNT: 0
	.section	.AMDGPU.gpr_maximums,"",@progbits
	.set amdgpu.max_num_vgpr, 0
	.set amdgpu.max_num_agpr, 0
	.set amdgpu.max_num_sgpr, 0
	.section	.AMDGPU.csdata,"",@progbits
	.type	__hip_cuid_5d4825ee3f8b2a85,@object ; @__hip_cuid_5d4825ee3f8b2a85
	.section	.bss,"aw",@nobits
	.globl	__hip_cuid_5d4825ee3f8b2a85
__hip_cuid_5d4825ee3f8b2a85:
	.byte	0                               ; 0x0
	.size	__hip_cuid_5d4825ee3f8b2a85, 1

	.ident	"AMD clang version 22.0.0git (https://github.com/RadeonOpenCompute/llvm-project roc-7.2.4 26084 f58b06dce1f9c15707c5f808fd002e18c2accf7e)"
	.section	".note.GNU-stack","",@progbits
	.addrsig
	.addrsig_sym __hip_cuid_5d4825ee3f8b2a85
	.amdgpu_metadata
---
amdhsa.kernels:
  - .args:
      - .actual_access:  read_only
        .address_space:  global
        .offset:         0
        .size:           8
        .value_kind:     global_buffer
      - .offset:         8
        .size:           4
        .value_kind:     by_value
      - .actual_access:  read_only
        .address_space:  global
        .offset:         16
        .size:           8
        .value_kind:     global_buffer
      - .actual_access:  read_only
        .address_space:  global
        .offset:         24
        .size:           8
        .value_kind:     global_buffer
      - .actual_access:  read_only
        .address_space:  global
        .offset:         32
        .size:           8
        .value_kind:     global_buffer
      - .actual_access:  read_only
        .address_space:  global
        .offset:         40
        .size:           8
        .value_kind:     global_buffer
      - .actual_access:  read_only
        .address_space:  global
        .offset:         48
        .size:           8
        .value_kind:     global_buffer
      - .offset:         56
        .size:           1
        .value_kind:     by_value
      - .actual_access:  read_only
        .address_space:  global
        .offset:         64
        .size:           8
        .value_kind:     global_buffer
      - .offset:         72
        .size:           4
        .value_kind:     by_value
      - .actual_access:  write_only
        .address_space:  global
        .offset:         80
        .size:           8
        .value_kind:     global_buffer
      - .actual_access:  write_only
        .address_space:  global
        .offset:         88
        .size:           8
        .value_kind:     global_buffer
      - .actual_access:  write_only
        .address_space:  global
        .offset:         96
        .size:           8
        .value_kind:     global_buffer
      - .offset:         104
        .size:           4
        .value_kind:     by_value
      - .offset:         108
        .size:           4
        .value_kind:     by_value
      - .actual_access:  write_only
        .address_space:  global
        .offset:         112
        .size:           8
        .value_kind:     global_buffer
      - .offset:         120
        .size:           1
        .value_kind:     by_value
      - .address_space:  global
        .offset:         128
        .size:           8
        .value_kind:     global_buffer
      - .offset:         136
        .size:           4
        .value_kind:     hidden_block_count_x
      - .offset:         140
        .size:           4
        .value_kind:     hidden_block_count_y
      - .offset:         144
        .size:           4
        .value_kind:     hidden_block_count_z
      - .offset:         148
        .size:           2
        .value_kind:     hidden_group_size_x
      - .offset:         150
        .size:           2
        .value_kind:     hidden_group_size_y
      - .offset:         152
        .size:           2
        .value_kind:     hidden_group_size_z
      - .offset:         154
        .size:           2
        .value_kind:     hidden_remainder_x
      - .offset:         156
        .size:           2
        .value_kind:     hidden_remainder_y
      - .offset:         158
        .size:           2
        .value_kind:     hidden_remainder_z
      - .offset:         176
        .size:           8
        .value_kind:     hidden_global_offset_x
      - .offset:         184
        .size:           8
        .value_kind:     hidden_global_offset_y
      - .offset:         192
        .size:           8
        .value_kind:     hidden_global_offset_z
      - .offset:         200
        .size:           2
        .value_kind:     hidden_grid_dims
    .group_segment_fixed_size: 0
    .kernarg_segment_align: 8
    .kernarg_segment_size: 392
    .language:       OpenCL C
    .language_version:
      - 2
      - 0
    .max_flat_workgroup_size: 1024
    .name:           _Z6kalmanILi8EEvPKdiS1_S1_S1_S1_S1_bS1_iPdS2_S2_iiS2_bS2_
    .private_segment_fixed_size: 2492
    .sgpr_count:     16
    .sgpr_spill_count: 0
    .symbol:         _Z6kalmanILi8EEvPKdiS1_S1_S1_S1_S1_bS1_iPdS2_S2_iiS2_bS2_.kd
    .uniform_work_group_size: 1
    .uses_dynamic_stack: false
    .vgpr_count:     128
    .vgpr_spill_count: 1414
    .wavefront_size: 32
amdhsa.target:   amdgcn-amd-amdhsa--gfx1250
amdhsa.version:
  - 1
  - 2
...

	.end_amdgpu_metadata
